;; amdgpu-corpus repo=ROCm/rocSPARSE kind=compiled arch=gfx906 opt=O3
	.amdgcn_target "amdgcn-amd-amdhsa--gfx906"
	.amdhsa_code_object_version 6
	.section	.text._ZN9rocsparseL29gebsrmm_small_blockdim_kernelILi1ELi2ELi2ELi16EfEEv20rocsparse_direction_20rocsparse_operation_iiNS_24const_host_device_scalarIT3_EEPKiS7_PKS4_iiS9_lS5_PS4_l21rocsparse_index_base_b,"axG",@progbits,_ZN9rocsparseL29gebsrmm_small_blockdim_kernelILi1ELi2ELi2ELi16EfEEv20rocsparse_direction_20rocsparse_operation_iiNS_24const_host_device_scalarIT3_EEPKiS7_PKS4_iiS9_lS5_PS4_l21rocsparse_index_base_b,comdat
	.globl	_ZN9rocsparseL29gebsrmm_small_blockdim_kernelILi1ELi2ELi2ELi16EfEEv20rocsparse_direction_20rocsparse_operation_iiNS_24const_host_device_scalarIT3_EEPKiS7_PKS4_iiS9_lS5_PS4_l21rocsparse_index_base_b ; -- Begin function _ZN9rocsparseL29gebsrmm_small_blockdim_kernelILi1ELi2ELi2ELi16EfEEv20rocsparse_direction_20rocsparse_operation_iiNS_24const_host_device_scalarIT3_EEPKiS7_PKS4_iiS9_lS5_PS4_l21rocsparse_index_base_b
	.p2align	8
	.type	_ZN9rocsparseL29gebsrmm_small_blockdim_kernelILi1ELi2ELi2ELi16EfEEv20rocsparse_direction_20rocsparse_operation_iiNS_24const_host_device_scalarIT3_EEPKiS7_PKS4_iiS9_lS5_PS4_l21rocsparse_index_base_b,@function
_ZN9rocsparseL29gebsrmm_small_blockdim_kernelILi1ELi2ELi2ELi16EfEEv20rocsparse_direction_20rocsparse_operation_iiNS_24const_host_device_scalarIT3_EEPKiS7_PKS4_iiS9_lS5_PS4_l21rocsparse_index_base_b: ; @_ZN9rocsparseL29gebsrmm_small_blockdim_kernelILi1ELi2ELi2ELi16EfEEv20rocsparse_direction_20rocsparse_operation_iiNS_24const_host_device_scalarIT3_EEPKiS7_PKS4_iiS9_lS5_PS4_l21rocsparse_index_base_b
; %bb.0:
	s_load_dwordx2 s[22:23], s[4:5], 0x60
	s_load_dwordx2 s[20:21], s[4:5], 0x10
	s_load_dwordx4 s[8:11], s[4:5], 0x40
	s_waitcnt lgkmcnt(0)
	s_bitcmp1_b32 s23, 0
	s_cselect_b64 s[2:3], -1, 0
	s_xor_b64 s[0:1], s[2:3], -1
	s_and_b64 vcc, exec, s[2:3]
	s_cbranch_vccnz .LBB0_2
; %bb.1:
	s_load_dword s20, s[20:21], 0x0
.LBB0_2:
	s_andn2_b64 vcc, exec, s[0:1]
	s_cbranch_vccnz .LBB0_4
; %bb.3:
	s_load_dword s10, s[10:11], 0x0
.LBB0_4:
	s_waitcnt lgkmcnt(0)
	v_cmp_eq_f32_e64 s[0:1], s20, 0
	v_cmp_eq_f32_e64 s[2:3], s10, 1.0
	s_and_b64 s[0:1], s[0:1], s[2:3]
	s_mov_b32 s11, 0
	s_and_b64 vcc, exec, s[0:1]
	s_cbranch_vccnz .LBB0_21
; %bb.5:
	s_load_dwordx4 s[16:19], s[4:5], 0x4
	s_mov_b32 s28, 0
	s_waitcnt lgkmcnt(0)
	s_cmp_lt_i32 s6, s17
	s_cselect_b64 s[26:27], -1, 0
	s_cmp_ge_i32 s6, s17
	s_cbranch_scc1 .LBB0_7
; %bb.6:
	s_load_dwordx2 s[2:3], s[4:5], 0x18
	s_mov_b32 s0, s7
	s_ashr_i32 s7, s6, 31
	s_lshl_b64 s[12:13], s[6:7], 2
	s_mov_b32 s7, s0
	s_waitcnt lgkmcnt(0)
	s_add_u32 s0, s2, s12
	s_addc_u32 s1, s3, s13
	s_load_dwordx2 s[2:3], s[0:1], 0x0
	s_waitcnt lgkmcnt(0)
	s_sub_i32 s28, s2, s22
	s_sub_i32 s11, s3, s22
.LBB0_7:
	s_load_dwordx2 s[24:25], s[4:5], 0x50
	v_lshl_add_u32 v2, s7, 4, v1
	v_ashrrev_i32_e32 v3, 31, v2
	v_cmp_gt_i32_e64 s[0:1], s18, v2
	v_cmp_eq_u32_e64 s[2:3], 0, v0
	s_cmp_ge_i32 s28, s11
	v_mov_b32_e32 v6, 0
	s_cbranch_scc1 .LBB0_17
; %bb.8:
	s_load_dwordx4 s[12:15], s[4:5], 0x20
	s_load_dwordx2 s[34:35], s[4:5], 0x38
	v_mul_lo_u32 v9, s9, v2
	v_mul_lo_u32 v12, s8, v3
	v_mad_u64_u32 v[10:11], s[36:37], s8, v2, 0
	v_cmp_gt_u32_e32 vcc, 2, v0
	v_lshlrev_b64 v[4:5], 2, v[2:3]
	s_and_b64 s[18:19], s[0:1], vcc
	v_cmp_gt_u32_e32 vcc, 2, v1
	s_and_b64 s[30:31], s[2:3], vcc
	s_waitcnt lgkmcnt(0)
	v_mov_b32_e32 v6, s35
	v_add_co_u32_e32 v7, vcc, s34, v4
	v_add3_u32 v11, v11, v12, v9
	v_lshlrev_b32_e32 v4, 1, v1
	v_addc_co_u32_e32 v8, vcc, v6, v5, vcc
	v_add_lshl_u32 v9, v4, v0, 2
	v_lshlrev_b64 v[4:5], 2, v[10:11]
	s_cmpk_lg_i32 s16, 0x6f
	s_cselect_b64 s[16:17], -1, 0
	v_add_co_u32_e32 v4, vcc, s34, v4
	s_ashr_i32 s29, s28, 31
	v_addc_co_u32_e32 v5, vcc, v6, v5, vcc
	v_lshlrev_b32_e32 v13, 2, v0
	s_lshl_b64 s[34:35], s[28:29], 2
	v_add_co_u32_e32 v10, vcc, v4, v13
	s_add_u32 s12, s12, s34
	v_mov_b32_e32 v6, 0
	v_addc_co_u32_e32 v11, vcc, 0, v5, vcc
	v_add_u32_e32 v12, 0x80, v9
	v_add_u32_e32 v13, 0x80, v13
	v_lshlrev_b32_e32 v14, 3, v1
	s_addc_u32 s13, s13, s35
	v_lshl_add_u32 v4, s28, 1, v1
	s_branch .LBB0_10
.LBB0_9:                                ;   in Loop: Header=BB0_10 Depth=1
	s_or_b64 exec, exec, s[34:35]
	s_waitcnt lgkmcnt(0)
	; wave barrier
	ds_read_b64 v[15:16], v14
	ds_read2_b32 v[17:18], v13 offset1:2
	s_add_i32 s28, s28, 1
	s_add_u32 s12, s12, 4
	s_addc_u32 s13, s13, 0
	s_cmp_ge_i32 s28, s11
	s_waitcnt lgkmcnt(0)
	v_fmac_f32_e32 v6, v17, v15
	v_fmac_f32_e32 v6, v18, v16
	v_add_u32_e32 v4, 2, v4
	; wave barrier
	s_cbranch_scc1 .LBB0_17
.LBB0_10:                               ; =>This Inner Loop Header: Depth=1
	v_mov_b32_e32 v1, 0
	s_and_saveexec_b64 s[34:35], s[18:19]
	s_cbranch_execz .LBB0_15
; %bb.11:                               ;   in Loop: Header=BB0_10 Depth=1
	s_load_dword s7, s[12:13], 0x0
	s_mov_b64 s[38:39], -1
	s_and_b64 vcc, exec, s[16:17]
                                        ; implicit-def: $vgpr1
	s_waitcnt lgkmcnt(0)
	s_sub_i32 s7, s7, s22
	s_lshl_b32 s36, s7, 1
	s_cbranch_vccz .LBB0_13
; %bb.12:                               ;   in Loop: Header=BB0_10 Depth=1
	v_or_b32_e32 v1, s36, v0
	v_mul_lo_u32 v5, s9, v1
	v_mad_u64_u32 v[15:16], s[38:39], s8, v1, 0
	s_ashr_i32 s7, s36, 31
	s_mul_i32 s7, s8, s7
	v_add3_u32 v16, v16, s7, v5
	v_lshlrev_b64 v[15:16], 2, v[15:16]
	s_mov_b64 s[38:39], 0
	v_add_co_u32_e32 v15, vcc, v7, v15
	v_addc_co_u32_e32 v16, vcc, v8, v16, vcc
	global_load_dword v1, v[15:16], off
.LBB0_13:                               ;   in Loop: Header=BB0_10 Depth=1
	s_andn2_b64 vcc, exec, s[38:39]
	s_cbranch_vccnz .LBB0_15
; %bb.14:                               ;   in Loop: Header=BB0_10 Depth=1
	s_ashr_i32 s37, s36, 31
	s_lshl_b64 s[36:37], s[36:37], 2
	s_waitcnt vmcnt(0)
	v_mov_b32_e32 v1, s37
	v_add_co_u32_e32 v15, vcc, s36, v10
	v_addc_co_u32_e32 v16, vcc, v11, v1, vcc
	global_load_dword v1, v[15:16], off
.LBB0_15:                               ;   in Loop: Header=BB0_10 Depth=1
	s_or_b64 exec, exec, s[34:35]
	s_waitcnt vmcnt(0)
	ds_write_b32 v9, v1
	s_and_saveexec_b64 s[34:35], s[30:31]
	s_cbranch_execz .LBB0_9
; %bb.16:                               ;   in Loop: Header=BB0_10 Depth=1
	v_ashrrev_i32_e32 v5, 31, v4
	v_lshlrev_b64 v[15:16], 2, v[4:5]
	v_mov_b32_e32 v1, s15
	v_add_co_u32_e32 v15, vcc, s14, v15
	v_addc_co_u32_e32 v16, vcc, v1, v16, vcc
	global_load_dword v1, v[15:16], off
	s_waitcnt vmcnt(0)
	ds_write_b32 v12, v1
	s_branch .LBB0_9
.LBB0_17:
	s_and_b64 s[0:1], s[2:3], s[0:1]
	s_and_b64 s[0:1], s[26:27], s[0:1]
	s_and_saveexec_b64 s[2:3], s[0:1]
	s_cbranch_execz .LBB0_21
; %bb.18:
	s_load_dwordx2 s[0:1], s[4:5], 0x58
	v_add_u32_e32 v0, s6, v0
	v_ashrrev_i32_e32 v1, 31, v0
	s_waitcnt lgkmcnt(0)
	v_mul_lo_u32 v4, s1, v2
	v_mul_lo_u32 v5, s0, v3
	v_mad_u64_u32 v[2:3], s[0:1], s0, v2, 0
	v_cmp_neq_f32_e64 s[0:1], s10, 0
	s_and_b64 vcc, exec, s[0:1]
	v_add3_u32 v3, v3, v5, v4
	v_lshlrev_b64 v[2:3], 2, v[2:3]
	v_mul_f32_e32 v4, s20, v6
	s_cbranch_vccz .LBB0_22
; %bb.19:
	v_mov_b32_e32 v5, s25
	v_add_co_u32_e32 v7, vcc, s24, v2
	v_addc_co_u32_e32 v8, vcc, v5, v3, vcc
	v_lshlrev_b64 v[5:6], 2, v[0:1]
	v_add_co_u32_e32 v5, vcc, v7, v5
	v_addc_co_u32_e32 v6, vcc, v8, v6, vcc
	global_load_dword v7, v[5:6], off
	s_waitcnt vmcnt(0)
	v_fma_f32 v7, s10, v7, v4
	global_store_dword v[5:6], v7, off
	s_cbranch_execnz .LBB0_21
.LBB0_20:
	v_mov_b32_e32 v5, s25
	v_add_co_u32_e32 v2, vcc, s24, v2
	v_lshlrev_b64 v[0:1], 2, v[0:1]
	v_addc_co_u32_e32 v3, vcc, v5, v3, vcc
	v_add_co_u32_e32 v0, vcc, v2, v0
	v_addc_co_u32_e32 v1, vcc, v3, v1, vcc
	global_store_dword v[0:1], v4, off
.LBB0_21:
	s_endpgm
.LBB0_22:
	s_branch .LBB0_20
	.section	.rodata,"a",@progbits
	.p2align	6, 0x0
	.amdhsa_kernel _ZN9rocsparseL29gebsrmm_small_blockdim_kernelILi1ELi2ELi2ELi16EfEEv20rocsparse_direction_20rocsparse_operation_iiNS_24const_host_device_scalarIT3_EEPKiS7_PKS4_iiS9_lS5_PS4_l21rocsparse_index_base_b
		.amdhsa_group_segment_fixed_size 144
		.amdhsa_private_segment_fixed_size 0
		.amdhsa_kernarg_size 104
		.amdhsa_user_sgpr_count 6
		.amdhsa_user_sgpr_private_segment_buffer 1
		.amdhsa_user_sgpr_dispatch_ptr 0
		.amdhsa_user_sgpr_queue_ptr 0
		.amdhsa_user_sgpr_kernarg_segment_ptr 1
		.amdhsa_user_sgpr_dispatch_id 0
		.amdhsa_user_sgpr_flat_scratch_init 0
		.amdhsa_user_sgpr_private_segment_size 0
		.amdhsa_uses_dynamic_stack 0
		.amdhsa_system_sgpr_private_segment_wavefront_offset 0
		.amdhsa_system_sgpr_workgroup_id_x 1
		.amdhsa_system_sgpr_workgroup_id_y 1
		.amdhsa_system_sgpr_workgroup_id_z 0
		.amdhsa_system_sgpr_workgroup_info 0
		.amdhsa_system_vgpr_workitem_id 1
		.amdhsa_next_free_vgpr 19
		.amdhsa_next_free_sgpr 40
		.amdhsa_reserve_vcc 1
		.amdhsa_reserve_flat_scratch 0
		.amdhsa_float_round_mode_32 0
		.amdhsa_float_round_mode_16_64 0
		.amdhsa_float_denorm_mode_32 3
		.amdhsa_float_denorm_mode_16_64 3
		.amdhsa_dx10_clamp 1
		.amdhsa_ieee_mode 1
		.amdhsa_fp16_overflow 0
		.amdhsa_exception_fp_ieee_invalid_op 0
		.amdhsa_exception_fp_denorm_src 0
		.amdhsa_exception_fp_ieee_div_zero 0
		.amdhsa_exception_fp_ieee_overflow 0
		.amdhsa_exception_fp_ieee_underflow 0
		.amdhsa_exception_fp_ieee_inexact 0
		.amdhsa_exception_int_div_zero 0
	.end_amdhsa_kernel
	.section	.text._ZN9rocsparseL29gebsrmm_small_blockdim_kernelILi1ELi2ELi2ELi16EfEEv20rocsparse_direction_20rocsparse_operation_iiNS_24const_host_device_scalarIT3_EEPKiS7_PKS4_iiS9_lS5_PS4_l21rocsparse_index_base_b,"axG",@progbits,_ZN9rocsparseL29gebsrmm_small_blockdim_kernelILi1ELi2ELi2ELi16EfEEv20rocsparse_direction_20rocsparse_operation_iiNS_24const_host_device_scalarIT3_EEPKiS7_PKS4_iiS9_lS5_PS4_l21rocsparse_index_base_b,comdat
.Lfunc_end0:
	.size	_ZN9rocsparseL29gebsrmm_small_blockdim_kernelILi1ELi2ELi2ELi16EfEEv20rocsparse_direction_20rocsparse_operation_iiNS_24const_host_device_scalarIT3_EEPKiS7_PKS4_iiS9_lS5_PS4_l21rocsparse_index_base_b, .Lfunc_end0-_ZN9rocsparseL29gebsrmm_small_blockdim_kernelILi1ELi2ELi2ELi16EfEEv20rocsparse_direction_20rocsparse_operation_iiNS_24const_host_device_scalarIT3_EEPKiS7_PKS4_iiS9_lS5_PS4_l21rocsparse_index_base_b
                                        ; -- End function
	.set _ZN9rocsparseL29gebsrmm_small_blockdim_kernelILi1ELi2ELi2ELi16EfEEv20rocsparse_direction_20rocsparse_operation_iiNS_24const_host_device_scalarIT3_EEPKiS7_PKS4_iiS9_lS5_PS4_l21rocsparse_index_base_b.num_vgpr, 19
	.set _ZN9rocsparseL29gebsrmm_small_blockdim_kernelILi1ELi2ELi2ELi16EfEEv20rocsparse_direction_20rocsparse_operation_iiNS_24const_host_device_scalarIT3_EEPKiS7_PKS4_iiS9_lS5_PS4_l21rocsparse_index_base_b.num_agpr, 0
	.set _ZN9rocsparseL29gebsrmm_small_blockdim_kernelILi1ELi2ELi2ELi16EfEEv20rocsparse_direction_20rocsparse_operation_iiNS_24const_host_device_scalarIT3_EEPKiS7_PKS4_iiS9_lS5_PS4_l21rocsparse_index_base_b.numbered_sgpr, 40
	.set _ZN9rocsparseL29gebsrmm_small_blockdim_kernelILi1ELi2ELi2ELi16EfEEv20rocsparse_direction_20rocsparse_operation_iiNS_24const_host_device_scalarIT3_EEPKiS7_PKS4_iiS9_lS5_PS4_l21rocsparse_index_base_b.num_named_barrier, 0
	.set _ZN9rocsparseL29gebsrmm_small_blockdim_kernelILi1ELi2ELi2ELi16EfEEv20rocsparse_direction_20rocsparse_operation_iiNS_24const_host_device_scalarIT3_EEPKiS7_PKS4_iiS9_lS5_PS4_l21rocsparse_index_base_b.private_seg_size, 0
	.set _ZN9rocsparseL29gebsrmm_small_blockdim_kernelILi1ELi2ELi2ELi16EfEEv20rocsparse_direction_20rocsparse_operation_iiNS_24const_host_device_scalarIT3_EEPKiS7_PKS4_iiS9_lS5_PS4_l21rocsparse_index_base_b.uses_vcc, 1
	.set _ZN9rocsparseL29gebsrmm_small_blockdim_kernelILi1ELi2ELi2ELi16EfEEv20rocsparse_direction_20rocsparse_operation_iiNS_24const_host_device_scalarIT3_EEPKiS7_PKS4_iiS9_lS5_PS4_l21rocsparse_index_base_b.uses_flat_scratch, 0
	.set _ZN9rocsparseL29gebsrmm_small_blockdim_kernelILi1ELi2ELi2ELi16EfEEv20rocsparse_direction_20rocsparse_operation_iiNS_24const_host_device_scalarIT3_EEPKiS7_PKS4_iiS9_lS5_PS4_l21rocsparse_index_base_b.has_dyn_sized_stack, 0
	.set _ZN9rocsparseL29gebsrmm_small_blockdim_kernelILi1ELi2ELi2ELi16EfEEv20rocsparse_direction_20rocsparse_operation_iiNS_24const_host_device_scalarIT3_EEPKiS7_PKS4_iiS9_lS5_PS4_l21rocsparse_index_base_b.has_recursion, 0
	.set _ZN9rocsparseL29gebsrmm_small_blockdim_kernelILi1ELi2ELi2ELi16EfEEv20rocsparse_direction_20rocsparse_operation_iiNS_24const_host_device_scalarIT3_EEPKiS7_PKS4_iiS9_lS5_PS4_l21rocsparse_index_base_b.has_indirect_call, 0
	.section	.AMDGPU.csdata,"",@progbits
; Kernel info:
; codeLenInByte = 912
; TotalNumSgprs: 44
; NumVgprs: 19
; ScratchSize: 0
; MemoryBound: 0
; FloatMode: 240
; IeeeMode: 1
; LDSByteSize: 144 bytes/workgroup (compile time only)
; SGPRBlocks: 5
; VGPRBlocks: 4
; NumSGPRsForWavesPerEU: 44
; NumVGPRsForWavesPerEU: 19
; Occupancy: 10
; WaveLimiterHint : 1
; COMPUTE_PGM_RSRC2:SCRATCH_EN: 0
; COMPUTE_PGM_RSRC2:USER_SGPR: 6
; COMPUTE_PGM_RSRC2:TRAP_HANDLER: 0
; COMPUTE_PGM_RSRC2:TGID_X_EN: 1
; COMPUTE_PGM_RSRC2:TGID_Y_EN: 1
; COMPUTE_PGM_RSRC2:TGID_Z_EN: 0
; COMPUTE_PGM_RSRC2:TIDIG_COMP_CNT: 1
	.section	.text._ZN9rocsparseL29gebsrmm_small_blockdim_kernelILi1ELi3ELi3ELi16EfEEv20rocsparse_direction_20rocsparse_operation_iiNS_24const_host_device_scalarIT3_EEPKiS7_PKS4_iiS9_lS5_PS4_l21rocsparse_index_base_b,"axG",@progbits,_ZN9rocsparseL29gebsrmm_small_blockdim_kernelILi1ELi3ELi3ELi16EfEEv20rocsparse_direction_20rocsparse_operation_iiNS_24const_host_device_scalarIT3_EEPKiS7_PKS4_iiS9_lS5_PS4_l21rocsparse_index_base_b,comdat
	.globl	_ZN9rocsparseL29gebsrmm_small_blockdim_kernelILi1ELi3ELi3ELi16EfEEv20rocsparse_direction_20rocsparse_operation_iiNS_24const_host_device_scalarIT3_EEPKiS7_PKS4_iiS9_lS5_PS4_l21rocsparse_index_base_b ; -- Begin function _ZN9rocsparseL29gebsrmm_small_blockdim_kernelILi1ELi3ELi3ELi16EfEEv20rocsparse_direction_20rocsparse_operation_iiNS_24const_host_device_scalarIT3_EEPKiS7_PKS4_iiS9_lS5_PS4_l21rocsparse_index_base_b
	.p2align	8
	.type	_ZN9rocsparseL29gebsrmm_small_blockdim_kernelILi1ELi3ELi3ELi16EfEEv20rocsparse_direction_20rocsparse_operation_iiNS_24const_host_device_scalarIT3_EEPKiS7_PKS4_iiS9_lS5_PS4_l21rocsparse_index_base_b,@function
_ZN9rocsparseL29gebsrmm_small_blockdim_kernelILi1ELi3ELi3ELi16EfEEv20rocsparse_direction_20rocsparse_operation_iiNS_24const_host_device_scalarIT3_EEPKiS7_PKS4_iiS9_lS5_PS4_l21rocsparse_index_base_b: ; @_ZN9rocsparseL29gebsrmm_small_blockdim_kernelILi1ELi3ELi3ELi16EfEEv20rocsparse_direction_20rocsparse_operation_iiNS_24const_host_device_scalarIT3_EEPKiS7_PKS4_iiS9_lS5_PS4_l21rocsparse_index_base_b
; %bb.0:
	s_load_dwordx2 s[22:23], s[4:5], 0x60
	s_load_dwordx2 s[20:21], s[4:5], 0x10
	s_load_dwordx4 s[8:11], s[4:5], 0x40
	s_waitcnt lgkmcnt(0)
	s_bitcmp1_b32 s23, 0
	s_cselect_b64 s[2:3], -1, 0
	s_xor_b64 s[0:1], s[2:3], -1
	s_and_b64 vcc, exec, s[2:3]
	s_cbranch_vccnz .LBB1_2
; %bb.1:
	s_load_dword s20, s[20:21], 0x0
.LBB1_2:
	s_andn2_b64 vcc, exec, s[0:1]
	s_cbranch_vccnz .LBB1_4
; %bb.3:
	s_load_dword s10, s[10:11], 0x0
.LBB1_4:
	s_waitcnt lgkmcnt(0)
	v_cmp_eq_f32_e64 s[0:1], s20, 0
	v_cmp_eq_f32_e64 s[2:3], s10, 1.0
	s_and_b64 s[0:1], s[0:1], s[2:3]
	s_mov_b32 s11, 0
	s_and_b64 vcc, exec, s[0:1]
	s_cbranch_vccnz .LBB1_21
; %bb.5:
	s_load_dwordx4 s[16:19], s[4:5], 0x4
	s_mov_b32 s28, 0
	s_waitcnt lgkmcnt(0)
	s_cmp_lt_i32 s6, s17
	s_cselect_b64 s[26:27], -1, 0
	s_cmp_ge_i32 s6, s17
	s_cbranch_scc1 .LBB1_7
; %bb.6:
	s_load_dwordx2 s[2:3], s[4:5], 0x18
	s_mov_b32 s0, s7
	s_ashr_i32 s7, s6, 31
	s_lshl_b64 s[12:13], s[6:7], 2
	s_mov_b32 s7, s0
	s_waitcnt lgkmcnt(0)
	s_add_u32 s0, s2, s12
	s_addc_u32 s1, s3, s13
	s_load_dwordx2 s[2:3], s[0:1], 0x0
	s_waitcnt lgkmcnt(0)
	s_sub_i32 s28, s2, s22
	s_sub_i32 s11, s3, s22
.LBB1_7:
	s_load_dwordx2 s[24:25], s[4:5], 0x50
	v_lshl_add_u32 v2, s7, 4, v1
	v_ashrrev_i32_e32 v3, 31, v2
	v_cmp_gt_i32_e64 s[0:1], s18, v2
	v_cmp_eq_u32_e64 s[2:3], 0, v0
	s_cmp_ge_i32 s28, s11
	v_mov_b32_e32 v6, 0
	s_cbranch_scc1 .LBB1_17
; %bb.8:
	s_load_dwordx4 s[12:15], s[4:5], 0x20
	s_load_dwordx2 s[34:35], s[4:5], 0x38
	v_mul_lo_u32 v9, s9, v2
	v_mul_lo_u32 v12, s8, v3
	v_mad_u64_u32 v[10:11], s[36:37], s8, v2, 0
	v_cmp_gt_u32_e32 vcc, 3, v0
	v_lshlrev_b64 v[4:5], 2, v[2:3]
	s_and_b64 s[18:19], s[0:1], vcc
	v_cmp_gt_u32_e32 vcc, 3, v1
	s_and_b64 s[30:31], s[2:3], vcc
	s_waitcnt lgkmcnt(0)
	v_mov_b32_e32 v6, s35
	v_add_co_u32_e32 v7, vcc, s34, v4
	v_add3_u32 v11, v11, v12, v9
	v_addc_co_u32_e32 v8, vcc, v6, v5, vcc
	v_lshlrev_b64 v[4:5], 2, v[10:11]
	v_lshlrev_b32_e32 v13, 2, v0
	v_add_co_u32_e32 v4, vcc, s34, v4
	v_addc_co_u32_e32 v5, vcc, v6, v5, vcc
	s_cmpk_lg_i32 s16, 0x6f
	v_add_co_u32_e32 v10, vcc, v4, v13
	s_cselect_b64 s[16:17], -1, 0
	v_addc_co_u32_e32 v11, vcc, 0, v5, vcc
	s_ashr_i32 s29, s28, 31
	v_mad_u64_u32 v[4:5], s[34:35], s28, 3, v[1:2]
	v_mul_u32_u24_e32 v14, 3, v1
	s_lshl_b64 s[34:35], s[28:29], 2
	v_add_lshl_u32 v9, v14, v0, 2
	s_add_u32 s12, s12, s34
	v_mov_b32_e32 v6, 0
	v_add_u32_e32 v12, 0xc0, v9
	v_add_u32_e32 v13, 0xc0, v13
	v_lshlrev_b32_e32 v14, 2, v14
	s_addc_u32 s13, s13, s35
	s_branch .LBB1_10
.LBB1_9:                                ;   in Loop: Header=BB1_10 Depth=1
	s_or_b64 exec, exec, s[34:35]
	s_waitcnt lgkmcnt(0)
	; wave barrier
	ds_read2_b32 v[15:16], v13 offset1:3
	ds_read2_b32 v[17:18], v14 offset1:1
	ds_read_b32 v1, v14 offset:8
	ds_read_b32 v5, v13 offset:24
	s_add_i32 s28, s28, 1
	s_add_u32 s12, s12, 4
	s_waitcnt lgkmcnt(2)
	v_fmac_f32_e32 v6, v15, v17
	v_fmac_f32_e32 v6, v16, v18
	s_addc_u32 s13, s13, 0
	s_waitcnt lgkmcnt(0)
	v_fmac_f32_e32 v6, v5, v1
	s_cmp_ge_i32 s28, s11
	v_add_u32_e32 v4, 3, v4
	; wave barrier
	s_cbranch_scc1 .LBB1_17
.LBB1_10:                               ; =>This Inner Loop Header: Depth=1
	v_mov_b32_e32 v1, 0
	s_and_saveexec_b64 s[34:35], s[18:19]
	s_cbranch_execz .LBB1_15
; %bb.11:                               ;   in Loop: Header=BB1_10 Depth=1
	s_load_dword s7, s[12:13], 0x0
	s_mov_b64 s[38:39], -1
	s_and_b64 vcc, exec, s[16:17]
                                        ; implicit-def: $vgpr1
	s_waitcnt lgkmcnt(0)
	s_sub_i32 s7, s7, s22
	s_mul_i32 s36, s7, 3
	s_cbranch_vccz .LBB1_13
; %bb.12:                               ;   in Loop: Header=BB1_10 Depth=1
	v_add_u32_e32 v1, s36, v0
	v_ashrrev_i32_e32 v5, 31, v1
	v_mul_lo_u32 v17, s9, v1
	v_mad_u64_u32 v[15:16], s[38:39], s8, v1, 0
	v_mul_lo_u32 v1, s8, v5
	s_mov_b64 s[38:39], 0
	v_add3_u32 v16, v16, v1, v17
	v_lshlrev_b64 v[15:16], 2, v[15:16]
	v_add_co_u32_e32 v15, vcc, v7, v15
	v_addc_co_u32_e32 v16, vcc, v8, v16, vcc
	global_load_dword v1, v[15:16], off
.LBB1_13:                               ;   in Loop: Header=BB1_10 Depth=1
	s_andn2_b64 vcc, exec, s[38:39]
	s_cbranch_vccnz .LBB1_15
; %bb.14:                               ;   in Loop: Header=BB1_10 Depth=1
	s_ashr_i32 s37, s36, 31
	s_lshl_b64 s[36:37], s[36:37], 2
	s_waitcnt vmcnt(0)
	v_mov_b32_e32 v1, s37
	v_add_co_u32_e32 v15, vcc, s36, v10
	v_addc_co_u32_e32 v16, vcc, v11, v1, vcc
	global_load_dword v1, v[15:16], off
.LBB1_15:                               ;   in Loop: Header=BB1_10 Depth=1
	s_or_b64 exec, exec, s[34:35]
	s_waitcnt vmcnt(0)
	ds_write_b32 v9, v1
	s_and_saveexec_b64 s[34:35], s[30:31]
	s_cbranch_execz .LBB1_9
; %bb.16:                               ;   in Loop: Header=BB1_10 Depth=1
	v_ashrrev_i32_e32 v5, 31, v4
	v_lshlrev_b64 v[15:16], 2, v[4:5]
	v_mov_b32_e32 v1, s15
	v_add_co_u32_e32 v15, vcc, s14, v15
	v_addc_co_u32_e32 v16, vcc, v1, v16, vcc
	global_load_dword v1, v[15:16], off
	s_waitcnt vmcnt(0)
	ds_write_b32 v12, v1
	s_branch .LBB1_9
.LBB1_17:
	s_and_b64 s[0:1], s[2:3], s[0:1]
	s_and_b64 s[0:1], s[26:27], s[0:1]
	s_and_saveexec_b64 s[2:3], s[0:1]
	s_cbranch_execz .LBB1_21
; %bb.18:
	s_load_dwordx2 s[0:1], s[4:5], 0x58
	v_add_u32_e32 v0, s6, v0
	v_ashrrev_i32_e32 v1, 31, v0
	s_waitcnt lgkmcnt(0)
	v_mul_lo_u32 v4, s1, v2
	v_mul_lo_u32 v5, s0, v3
	v_mad_u64_u32 v[2:3], s[0:1], s0, v2, 0
	v_cmp_neq_f32_e64 s[0:1], s10, 0
	s_and_b64 vcc, exec, s[0:1]
	v_add3_u32 v3, v3, v5, v4
	v_lshlrev_b64 v[2:3], 2, v[2:3]
	v_mul_f32_e32 v4, s20, v6
	s_cbranch_vccz .LBB1_22
; %bb.19:
	v_mov_b32_e32 v5, s25
	v_add_co_u32_e32 v7, vcc, s24, v2
	v_addc_co_u32_e32 v8, vcc, v5, v3, vcc
	v_lshlrev_b64 v[5:6], 2, v[0:1]
	v_add_co_u32_e32 v5, vcc, v7, v5
	v_addc_co_u32_e32 v6, vcc, v8, v6, vcc
	global_load_dword v7, v[5:6], off
	s_waitcnt vmcnt(0)
	v_fma_f32 v7, s10, v7, v4
	global_store_dword v[5:6], v7, off
	s_cbranch_execnz .LBB1_21
.LBB1_20:
	v_mov_b32_e32 v5, s25
	v_add_co_u32_e32 v2, vcc, s24, v2
	v_lshlrev_b64 v[0:1], 2, v[0:1]
	v_addc_co_u32_e32 v3, vcc, v5, v3, vcc
	v_add_co_u32_e32 v0, vcc, v2, v0
	v_addc_co_u32_e32 v1, vcc, v3, v1, vcc
	global_store_dword v[0:1], v4, off
.LBB1_21:
	s_endpgm
.LBB1_22:
	s_branch .LBB1_20
	.section	.rodata,"a",@progbits
	.p2align	6, 0x0
	.amdhsa_kernel _ZN9rocsparseL29gebsrmm_small_blockdim_kernelILi1ELi3ELi3ELi16EfEEv20rocsparse_direction_20rocsparse_operation_iiNS_24const_host_device_scalarIT3_EEPKiS7_PKS4_iiS9_lS5_PS4_l21rocsparse_index_base_b
		.amdhsa_group_segment_fixed_size 228
		.amdhsa_private_segment_fixed_size 0
		.amdhsa_kernarg_size 104
		.amdhsa_user_sgpr_count 6
		.amdhsa_user_sgpr_private_segment_buffer 1
		.amdhsa_user_sgpr_dispatch_ptr 0
		.amdhsa_user_sgpr_queue_ptr 0
		.amdhsa_user_sgpr_kernarg_segment_ptr 1
		.amdhsa_user_sgpr_dispatch_id 0
		.amdhsa_user_sgpr_flat_scratch_init 0
		.amdhsa_user_sgpr_private_segment_size 0
		.amdhsa_uses_dynamic_stack 0
		.amdhsa_system_sgpr_private_segment_wavefront_offset 0
		.amdhsa_system_sgpr_workgroup_id_x 1
		.amdhsa_system_sgpr_workgroup_id_y 1
		.amdhsa_system_sgpr_workgroup_id_z 0
		.amdhsa_system_sgpr_workgroup_info 0
		.amdhsa_system_vgpr_workitem_id 1
		.amdhsa_next_free_vgpr 19
		.amdhsa_next_free_sgpr 40
		.amdhsa_reserve_vcc 1
		.amdhsa_reserve_flat_scratch 0
		.amdhsa_float_round_mode_32 0
		.amdhsa_float_round_mode_16_64 0
		.amdhsa_float_denorm_mode_32 3
		.amdhsa_float_denorm_mode_16_64 3
		.amdhsa_dx10_clamp 1
		.amdhsa_ieee_mode 1
		.amdhsa_fp16_overflow 0
		.amdhsa_exception_fp_ieee_invalid_op 0
		.amdhsa_exception_fp_denorm_src 0
		.amdhsa_exception_fp_ieee_div_zero 0
		.amdhsa_exception_fp_ieee_overflow 0
		.amdhsa_exception_fp_ieee_underflow 0
		.amdhsa_exception_fp_ieee_inexact 0
		.amdhsa_exception_int_div_zero 0
	.end_amdhsa_kernel
	.section	.text._ZN9rocsparseL29gebsrmm_small_blockdim_kernelILi1ELi3ELi3ELi16EfEEv20rocsparse_direction_20rocsparse_operation_iiNS_24const_host_device_scalarIT3_EEPKiS7_PKS4_iiS9_lS5_PS4_l21rocsparse_index_base_b,"axG",@progbits,_ZN9rocsparseL29gebsrmm_small_blockdim_kernelILi1ELi3ELi3ELi16EfEEv20rocsparse_direction_20rocsparse_operation_iiNS_24const_host_device_scalarIT3_EEPKiS7_PKS4_iiS9_lS5_PS4_l21rocsparse_index_base_b,comdat
.Lfunc_end1:
	.size	_ZN9rocsparseL29gebsrmm_small_blockdim_kernelILi1ELi3ELi3ELi16EfEEv20rocsparse_direction_20rocsparse_operation_iiNS_24const_host_device_scalarIT3_EEPKiS7_PKS4_iiS9_lS5_PS4_l21rocsparse_index_base_b, .Lfunc_end1-_ZN9rocsparseL29gebsrmm_small_blockdim_kernelILi1ELi3ELi3ELi16EfEEv20rocsparse_direction_20rocsparse_operation_iiNS_24const_host_device_scalarIT3_EEPKiS7_PKS4_iiS9_lS5_PS4_l21rocsparse_index_base_b
                                        ; -- End function
	.set _ZN9rocsparseL29gebsrmm_small_blockdim_kernelILi1ELi3ELi3ELi16EfEEv20rocsparse_direction_20rocsparse_operation_iiNS_24const_host_device_scalarIT3_EEPKiS7_PKS4_iiS9_lS5_PS4_l21rocsparse_index_base_b.num_vgpr, 19
	.set _ZN9rocsparseL29gebsrmm_small_blockdim_kernelILi1ELi3ELi3ELi16EfEEv20rocsparse_direction_20rocsparse_operation_iiNS_24const_host_device_scalarIT3_EEPKiS7_PKS4_iiS9_lS5_PS4_l21rocsparse_index_base_b.num_agpr, 0
	.set _ZN9rocsparseL29gebsrmm_small_blockdim_kernelILi1ELi3ELi3ELi16EfEEv20rocsparse_direction_20rocsparse_operation_iiNS_24const_host_device_scalarIT3_EEPKiS7_PKS4_iiS9_lS5_PS4_l21rocsparse_index_base_b.numbered_sgpr, 40
	.set _ZN9rocsparseL29gebsrmm_small_blockdim_kernelILi1ELi3ELi3ELi16EfEEv20rocsparse_direction_20rocsparse_operation_iiNS_24const_host_device_scalarIT3_EEPKiS7_PKS4_iiS9_lS5_PS4_l21rocsparse_index_base_b.num_named_barrier, 0
	.set _ZN9rocsparseL29gebsrmm_small_blockdim_kernelILi1ELi3ELi3ELi16EfEEv20rocsparse_direction_20rocsparse_operation_iiNS_24const_host_device_scalarIT3_EEPKiS7_PKS4_iiS9_lS5_PS4_l21rocsparse_index_base_b.private_seg_size, 0
	.set _ZN9rocsparseL29gebsrmm_small_blockdim_kernelILi1ELi3ELi3ELi16EfEEv20rocsparse_direction_20rocsparse_operation_iiNS_24const_host_device_scalarIT3_EEPKiS7_PKS4_iiS9_lS5_PS4_l21rocsparse_index_base_b.uses_vcc, 1
	.set _ZN9rocsparseL29gebsrmm_small_blockdim_kernelILi1ELi3ELi3ELi16EfEEv20rocsparse_direction_20rocsparse_operation_iiNS_24const_host_device_scalarIT3_EEPKiS7_PKS4_iiS9_lS5_PS4_l21rocsparse_index_base_b.uses_flat_scratch, 0
	.set _ZN9rocsparseL29gebsrmm_small_blockdim_kernelILi1ELi3ELi3ELi16EfEEv20rocsparse_direction_20rocsparse_operation_iiNS_24const_host_device_scalarIT3_EEPKiS7_PKS4_iiS9_lS5_PS4_l21rocsparse_index_base_b.has_dyn_sized_stack, 0
	.set _ZN9rocsparseL29gebsrmm_small_blockdim_kernelILi1ELi3ELi3ELi16EfEEv20rocsparse_direction_20rocsparse_operation_iiNS_24const_host_device_scalarIT3_EEPKiS7_PKS4_iiS9_lS5_PS4_l21rocsparse_index_base_b.has_recursion, 0
	.set _ZN9rocsparseL29gebsrmm_small_blockdim_kernelILi1ELi3ELi3ELi16EfEEv20rocsparse_direction_20rocsparse_operation_iiNS_24const_host_device_scalarIT3_EEPKiS7_PKS4_iiS9_lS5_PS4_l21rocsparse_index_base_b.has_indirect_call, 0
	.section	.AMDGPU.csdata,"",@progbits
; Kernel info:
; codeLenInByte = 940
; TotalNumSgprs: 44
; NumVgprs: 19
; ScratchSize: 0
; MemoryBound: 0
; FloatMode: 240
; IeeeMode: 1
; LDSByteSize: 228 bytes/workgroup (compile time only)
; SGPRBlocks: 5
; VGPRBlocks: 4
; NumSGPRsForWavesPerEU: 44
; NumVGPRsForWavesPerEU: 19
; Occupancy: 10
; WaveLimiterHint : 1
; COMPUTE_PGM_RSRC2:SCRATCH_EN: 0
; COMPUTE_PGM_RSRC2:USER_SGPR: 6
; COMPUTE_PGM_RSRC2:TRAP_HANDLER: 0
; COMPUTE_PGM_RSRC2:TGID_X_EN: 1
; COMPUTE_PGM_RSRC2:TGID_Y_EN: 1
; COMPUTE_PGM_RSRC2:TGID_Z_EN: 0
; COMPUTE_PGM_RSRC2:TIDIG_COMP_CNT: 1
	.section	.text._ZN9rocsparseL29gebsrmm_small_blockdim_kernelILi1ELi4ELi4ELi16EfEEv20rocsparse_direction_20rocsparse_operation_iiNS_24const_host_device_scalarIT3_EEPKiS7_PKS4_iiS9_lS5_PS4_l21rocsparse_index_base_b,"axG",@progbits,_ZN9rocsparseL29gebsrmm_small_blockdim_kernelILi1ELi4ELi4ELi16EfEEv20rocsparse_direction_20rocsparse_operation_iiNS_24const_host_device_scalarIT3_EEPKiS7_PKS4_iiS9_lS5_PS4_l21rocsparse_index_base_b,comdat
	.globl	_ZN9rocsparseL29gebsrmm_small_blockdim_kernelILi1ELi4ELi4ELi16EfEEv20rocsparse_direction_20rocsparse_operation_iiNS_24const_host_device_scalarIT3_EEPKiS7_PKS4_iiS9_lS5_PS4_l21rocsparse_index_base_b ; -- Begin function _ZN9rocsparseL29gebsrmm_small_blockdim_kernelILi1ELi4ELi4ELi16EfEEv20rocsparse_direction_20rocsparse_operation_iiNS_24const_host_device_scalarIT3_EEPKiS7_PKS4_iiS9_lS5_PS4_l21rocsparse_index_base_b
	.p2align	8
	.type	_ZN9rocsparseL29gebsrmm_small_blockdim_kernelILi1ELi4ELi4ELi16EfEEv20rocsparse_direction_20rocsparse_operation_iiNS_24const_host_device_scalarIT3_EEPKiS7_PKS4_iiS9_lS5_PS4_l21rocsparse_index_base_b,@function
_ZN9rocsparseL29gebsrmm_small_blockdim_kernelILi1ELi4ELi4ELi16EfEEv20rocsparse_direction_20rocsparse_operation_iiNS_24const_host_device_scalarIT3_EEPKiS7_PKS4_iiS9_lS5_PS4_l21rocsparse_index_base_b: ; @_ZN9rocsparseL29gebsrmm_small_blockdim_kernelILi1ELi4ELi4ELi16EfEEv20rocsparse_direction_20rocsparse_operation_iiNS_24const_host_device_scalarIT3_EEPKiS7_PKS4_iiS9_lS5_PS4_l21rocsparse_index_base_b
; %bb.0:
	s_load_dwordx2 s[22:23], s[4:5], 0x60
	s_load_dwordx2 s[20:21], s[4:5], 0x10
	s_load_dwordx4 s[8:11], s[4:5], 0x40
	s_waitcnt lgkmcnt(0)
	s_bitcmp1_b32 s23, 0
	s_cselect_b64 s[2:3], -1, 0
	s_xor_b64 s[0:1], s[2:3], -1
	s_and_b64 vcc, exec, s[2:3]
	s_cbranch_vccnz .LBB2_2
; %bb.1:
	s_load_dword s20, s[20:21], 0x0
.LBB2_2:
	s_andn2_b64 vcc, exec, s[0:1]
	s_cbranch_vccnz .LBB2_4
; %bb.3:
	s_load_dword s10, s[10:11], 0x0
.LBB2_4:
	s_waitcnt lgkmcnt(0)
	v_cmp_eq_f32_e64 s[0:1], s20, 0
	v_cmp_eq_f32_e64 s[2:3], s10, 1.0
	s_and_b64 s[0:1], s[0:1], s[2:3]
	s_mov_b32 s11, 0
	s_and_b64 vcc, exec, s[0:1]
	s_cbranch_vccnz .LBB2_21
; %bb.5:
	s_load_dwordx4 s[16:19], s[4:5], 0x4
	s_mov_b32 s28, 0
	s_waitcnt lgkmcnt(0)
	s_cmp_lt_i32 s6, s17
	s_cselect_b64 s[26:27], -1, 0
	s_cmp_ge_i32 s6, s17
	s_cbranch_scc1 .LBB2_7
; %bb.6:
	s_load_dwordx2 s[2:3], s[4:5], 0x18
	s_mov_b32 s0, s7
	s_ashr_i32 s7, s6, 31
	s_lshl_b64 s[12:13], s[6:7], 2
	s_mov_b32 s7, s0
	s_waitcnt lgkmcnt(0)
	s_add_u32 s0, s2, s12
	s_addc_u32 s1, s3, s13
	s_load_dwordx2 s[2:3], s[0:1], 0x0
	s_waitcnt lgkmcnt(0)
	s_sub_i32 s28, s2, s22
	s_sub_i32 s11, s3, s22
.LBB2_7:
	s_load_dwordx2 s[24:25], s[4:5], 0x50
	v_lshl_add_u32 v2, s7, 4, v1
	v_ashrrev_i32_e32 v3, 31, v2
	v_cmp_gt_i32_e64 s[0:1], s18, v2
	v_cmp_eq_u32_e64 s[2:3], 0, v0
	s_cmp_ge_i32 s28, s11
	v_mov_b32_e32 v6, 0
	s_cbranch_scc1 .LBB2_17
; %bb.8:
	s_load_dwordx4 s[12:15], s[4:5], 0x20
	s_load_dwordx2 s[34:35], s[4:5], 0x38
	v_mul_lo_u32 v9, s9, v2
	v_mul_lo_u32 v12, s8, v3
	v_mad_u64_u32 v[10:11], s[36:37], s8, v2, 0
	v_cmp_gt_u32_e32 vcc, 4, v0
	v_lshlrev_b64 v[4:5], 2, v[2:3]
	s_and_b64 s[18:19], s[0:1], vcc
	v_cmp_gt_u32_e32 vcc, 4, v1
	s_and_b64 s[30:31], s[2:3], vcc
	s_waitcnt lgkmcnt(0)
	v_mov_b32_e32 v6, s35
	v_add_co_u32_e32 v7, vcc, s34, v4
	v_add3_u32 v11, v11, v12, v9
	v_lshlrev_b32_e32 v4, 2, v1
	v_addc_co_u32_e32 v8, vcc, v6, v5, vcc
	v_add_lshl_u32 v9, v4, v0, 2
	v_lshlrev_b64 v[4:5], 2, v[10:11]
	s_cmpk_lg_i32 s16, 0x6f
	s_cselect_b64 s[16:17], -1, 0
	v_add_co_u32_e32 v4, vcc, s34, v4
	s_ashr_i32 s29, s28, 31
	v_addc_co_u32_e32 v5, vcc, v6, v5, vcc
	v_lshlrev_b32_e32 v13, 2, v0
	s_lshl_b64 s[34:35], s[28:29], 2
	v_add_co_u32_e32 v10, vcc, v4, v13
	s_add_u32 s12, s12, s34
	v_mov_b32_e32 v6, 0
	v_addc_co_u32_e32 v11, vcc, 0, v5, vcc
	v_add_u32_e32 v12, 0x100, v9
	v_add_u32_e32 v13, 0x100, v13
	v_lshlrev_b32_e32 v14, 4, v1
	s_addc_u32 s13, s13, s35
	v_lshl_add_u32 v4, s28, 2, v1
	s_branch .LBB2_10
.LBB2_9:                                ;   in Loop: Header=BB2_10 Depth=1
	s_or_b64 exec, exec, s[34:35]
	s_waitcnt lgkmcnt(0)
	; wave barrier
	ds_read_b128 v[15:18], v14
	ds_read2_b32 v[19:20], v13 offset1:4
	ds_read2_b32 v[21:22], v13 offset0:8 offset1:12
	s_add_i32 s28, s28, 1
	s_add_u32 s12, s12, 4
	s_addc_u32 s13, s13, 0
	s_waitcnt lgkmcnt(1)
	v_fmac_f32_e32 v6, v19, v15
	v_fmac_f32_e32 v6, v20, v16
	s_waitcnt lgkmcnt(0)
	v_fmac_f32_e32 v6, v21, v17
	v_fmac_f32_e32 v6, v22, v18
	s_cmp_ge_i32 s28, s11
	v_add_u32_e32 v4, 4, v4
	; wave barrier
	s_cbranch_scc1 .LBB2_17
.LBB2_10:                               ; =>This Inner Loop Header: Depth=1
	v_mov_b32_e32 v1, 0
	s_and_saveexec_b64 s[34:35], s[18:19]
	s_cbranch_execz .LBB2_15
; %bb.11:                               ;   in Loop: Header=BB2_10 Depth=1
	s_load_dword s7, s[12:13], 0x0
	s_mov_b64 s[38:39], -1
	s_and_b64 vcc, exec, s[16:17]
                                        ; implicit-def: $vgpr1
	s_waitcnt lgkmcnt(0)
	s_sub_i32 s7, s7, s22
	s_lshl_b32 s36, s7, 2
	s_cbranch_vccz .LBB2_13
; %bb.12:                               ;   in Loop: Header=BB2_10 Depth=1
	v_or_b32_e32 v1, s36, v0
	v_mul_lo_u32 v5, s9, v1
	v_mad_u64_u32 v[15:16], s[38:39], s8, v1, 0
	s_ashr_i32 s7, s36, 31
	s_mul_i32 s7, s8, s7
	v_add3_u32 v16, v16, s7, v5
	v_lshlrev_b64 v[15:16], 2, v[15:16]
	s_mov_b64 s[38:39], 0
	v_add_co_u32_e32 v15, vcc, v7, v15
	v_addc_co_u32_e32 v16, vcc, v8, v16, vcc
	global_load_dword v1, v[15:16], off
.LBB2_13:                               ;   in Loop: Header=BB2_10 Depth=1
	s_andn2_b64 vcc, exec, s[38:39]
	s_cbranch_vccnz .LBB2_15
; %bb.14:                               ;   in Loop: Header=BB2_10 Depth=1
	s_ashr_i32 s37, s36, 31
	s_lshl_b64 s[36:37], s[36:37], 2
	s_waitcnt vmcnt(0)
	v_mov_b32_e32 v1, s37
	v_add_co_u32_e32 v15, vcc, s36, v10
	v_addc_co_u32_e32 v16, vcc, v11, v1, vcc
	global_load_dword v1, v[15:16], off
.LBB2_15:                               ;   in Loop: Header=BB2_10 Depth=1
	s_or_b64 exec, exec, s[34:35]
	s_waitcnt vmcnt(0)
	ds_write_b32 v9, v1
	s_and_saveexec_b64 s[34:35], s[30:31]
	s_cbranch_execz .LBB2_9
; %bb.16:                               ;   in Loop: Header=BB2_10 Depth=1
	v_ashrrev_i32_e32 v5, 31, v4
	v_lshlrev_b64 v[15:16], 2, v[4:5]
	v_mov_b32_e32 v1, s15
	v_add_co_u32_e32 v15, vcc, s14, v15
	v_addc_co_u32_e32 v16, vcc, v1, v16, vcc
	global_load_dword v1, v[15:16], off
	s_waitcnt vmcnt(0)
	ds_write_b32 v12, v1
	s_branch .LBB2_9
.LBB2_17:
	s_and_b64 s[0:1], s[2:3], s[0:1]
	s_and_b64 s[0:1], s[26:27], s[0:1]
	s_and_saveexec_b64 s[2:3], s[0:1]
	s_cbranch_execz .LBB2_21
; %bb.18:
	s_load_dwordx2 s[0:1], s[4:5], 0x58
	v_add_u32_e32 v0, s6, v0
	v_ashrrev_i32_e32 v1, 31, v0
	s_waitcnt lgkmcnt(0)
	v_mul_lo_u32 v4, s1, v2
	v_mul_lo_u32 v5, s0, v3
	v_mad_u64_u32 v[2:3], s[0:1], s0, v2, 0
	v_cmp_neq_f32_e64 s[0:1], s10, 0
	s_and_b64 vcc, exec, s[0:1]
	v_add3_u32 v3, v3, v5, v4
	v_lshlrev_b64 v[2:3], 2, v[2:3]
	v_mul_f32_e32 v4, s20, v6
	s_cbranch_vccz .LBB2_22
; %bb.19:
	v_mov_b32_e32 v5, s25
	v_add_co_u32_e32 v7, vcc, s24, v2
	v_addc_co_u32_e32 v8, vcc, v5, v3, vcc
	v_lshlrev_b64 v[5:6], 2, v[0:1]
	v_add_co_u32_e32 v5, vcc, v7, v5
	v_addc_co_u32_e32 v6, vcc, v8, v6, vcc
	global_load_dword v7, v[5:6], off
	s_waitcnt vmcnt(0)
	v_fma_f32 v7, s10, v7, v4
	global_store_dword v[5:6], v7, off
	s_cbranch_execnz .LBB2_21
.LBB2_20:
	v_mov_b32_e32 v5, s25
	v_add_co_u32_e32 v2, vcc, s24, v2
	v_lshlrev_b64 v[0:1], 2, v[0:1]
	v_addc_co_u32_e32 v3, vcc, v5, v3, vcc
	v_add_co_u32_e32 v0, vcc, v2, v0
	v_addc_co_u32_e32 v1, vcc, v3, v1, vcc
	global_store_dword v[0:1], v4, off
.LBB2_21:
	s_endpgm
.LBB2_22:
	s_branch .LBB2_20
	.section	.rodata,"a",@progbits
	.p2align	6, 0x0
	.amdhsa_kernel _ZN9rocsparseL29gebsrmm_small_blockdim_kernelILi1ELi4ELi4ELi16EfEEv20rocsparse_direction_20rocsparse_operation_iiNS_24const_host_device_scalarIT3_EEPKiS7_PKS4_iiS9_lS5_PS4_l21rocsparse_index_base_b
		.amdhsa_group_segment_fixed_size 320
		.amdhsa_private_segment_fixed_size 0
		.amdhsa_kernarg_size 104
		.amdhsa_user_sgpr_count 6
		.amdhsa_user_sgpr_private_segment_buffer 1
		.amdhsa_user_sgpr_dispatch_ptr 0
		.amdhsa_user_sgpr_queue_ptr 0
		.amdhsa_user_sgpr_kernarg_segment_ptr 1
		.amdhsa_user_sgpr_dispatch_id 0
		.amdhsa_user_sgpr_flat_scratch_init 0
		.amdhsa_user_sgpr_private_segment_size 0
		.amdhsa_uses_dynamic_stack 0
		.amdhsa_system_sgpr_private_segment_wavefront_offset 0
		.amdhsa_system_sgpr_workgroup_id_x 1
		.amdhsa_system_sgpr_workgroup_id_y 1
		.amdhsa_system_sgpr_workgroup_id_z 0
		.amdhsa_system_sgpr_workgroup_info 0
		.amdhsa_system_vgpr_workitem_id 1
		.amdhsa_next_free_vgpr 23
		.amdhsa_next_free_sgpr 40
		.amdhsa_reserve_vcc 1
		.amdhsa_reserve_flat_scratch 0
		.amdhsa_float_round_mode_32 0
		.amdhsa_float_round_mode_16_64 0
		.amdhsa_float_denorm_mode_32 3
		.amdhsa_float_denorm_mode_16_64 3
		.amdhsa_dx10_clamp 1
		.amdhsa_ieee_mode 1
		.amdhsa_fp16_overflow 0
		.amdhsa_exception_fp_ieee_invalid_op 0
		.amdhsa_exception_fp_denorm_src 0
		.amdhsa_exception_fp_ieee_div_zero 0
		.amdhsa_exception_fp_ieee_overflow 0
		.amdhsa_exception_fp_ieee_underflow 0
		.amdhsa_exception_fp_ieee_inexact 0
		.amdhsa_exception_int_div_zero 0
	.end_amdhsa_kernel
	.section	.text._ZN9rocsparseL29gebsrmm_small_blockdim_kernelILi1ELi4ELi4ELi16EfEEv20rocsparse_direction_20rocsparse_operation_iiNS_24const_host_device_scalarIT3_EEPKiS7_PKS4_iiS9_lS5_PS4_l21rocsparse_index_base_b,"axG",@progbits,_ZN9rocsparseL29gebsrmm_small_blockdim_kernelILi1ELi4ELi4ELi16EfEEv20rocsparse_direction_20rocsparse_operation_iiNS_24const_host_device_scalarIT3_EEPKiS7_PKS4_iiS9_lS5_PS4_l21rocsparse_index_base_b,comdat
.Lfunc_end2:
	.size	_ZN9rocsparseL29gebsrmm_small_blockdim_kernelILi1ELi4ELi4ELi16EfEEv20rocsparse_direction_20rocsparse_operation_iiNS_24const_host_device_scalarIT3_EEPKiS7_PKS4_iiS9_lS5_PS4_l21rocsparse_index_base_b, .Lfunc_end2-_ZN9rocsparseL29gebsrmm_small_blockdim_kernelILi1ELi4ELi4ELi16EfEEv20rocsparse_direction_20rocsparse_operation_iiNS_24const_host_device_scalarIT3_EEPKiS7_PKS4_iiS9_lS5_PS4_l21rocsparse_index_base_b
                                        ; -- End function
	.set _ZN9rocsparseL29gebsrmm_small_blockdim_kernelILi1ELi4ELi4ELi16EfEEv20rocsparse_direction_20rocsparse_operation_iiNS_24const_host_device_scalarIT3_EEPKiS7_PKS4_iiS9_lS5_PS4_l21rocsparse_index_base_b.num_vgpr, 23
	.set _ZN9rocsparseL29gebsrmm_small_blockdim_kernelILi1ELi4ELi4ELi16EfEEv20rocsparse_direction_20rocsparse_operation_iiNS_24const_host_device_scalarIT3_EEPKiS7_PKS4_iiS9_lS5_PS4_l21rocsparse_index_base_b.num_agpr, 0
	.set _ZN9rocsparseL29gebsrmm_small_blockdim_kernelILi1ELi4ELi4ELi16EfEEv20rocsparse_direction_20rocsparse_operation_iiNS_24const_host_device_scalarIT3_EEPKiS7_PKS4_iiS9_lS5_PS4_l21rocsparse_index_base_b.numbered_sgpr, 40
	.set _ZN9rocsparseL29gebsrmm_small_blockdim_kernelILi1ELi4ELi4ELi16EfEEv20rocsparse_direction_20rocsparse_operation_iiNS_24const_host_device_scalarIT3_EEPKiS7_PKS4_iiS9_lS5_PS4_l21rocsparse_index_base_b.num_named_barrier, 0
	.set _ZN9rocsparseL29gebsrmm_small_blockdim_kernelILi1ELi4ELi4ELi16EfEEv20rocsparse_direction_20rocsparse_operation_iiNS_24const_host_device_scalarIT3_EEPKiS7_PKS4_iiS9_lS5_PS4_l21rocsparse_index_base_b.private_seg_size, 0
	.set _ZN9rocsparseL29gebsrmm_small_blockdim_kernelILi1ELi4ELi4ELi16EfEEv20rocsparse_direction_20rocsparse_operation_iiNS_24const_host_device_scalarIT3_EEPKiS7_PKS4_iiS9_lS5_PS4_l21rocsparse_index_base_b.uses_vcc, 1
	.set _ZN9rocsparseL29gebsrmm_small_blockdim_kernelILi1ELi4ELi4ELi16EfEEv20rocsparse_direction_20rocsparse_operation_iiNS_24const_host_device_scalarIT3_EEPKiS7_PKS4_iiS9_lS5_PS4_l21rocsparse_index_base_b.uses_flat_scratch, 0
	.set _ZN9rocsparseL29gebsrmm_small_blockdim_kernelILi1ELi4ELi4ELi16EfEEv20rocsparse_direction_20rocsparse_operation_iiNS_24const_host_device_scalarIT3_EEPKiS7_PKS4_iiS9_lS5_PS4_l21rocsparse_index_base_b.has_dyn_sized_stack, 0
	.set _ZN9rocsparseL29gebsrmm_small_blockdim_kernelILi1ELi4ELi4ELi16EfEEv20rocsparse_direction_20rocsparse_operation_iiNS_24const_host_device_scalarIT3_EEPKiS7_PKS4_iiS9_lS5_PS4_l21rocsparse_index_base_b.has_recursion, 0
	.set _ZN9rocsparseL29gebsrmm_small_blockdim_kernelILi1ELi4ELi4ELi16EfEEv20rocsparse_direction_20rocsparse_operation_iiNS_24const_host_device_scalarIT3_EEPKiS7_PKS4_iiS9_lS5_PS4_l21rocsparse_index_base_b.has_indirect_call, 0
	.section	.AMDGPU.csdata,"",@progbits
; Kernel info:
; codeLenInByte = 932
; TotalNumSgprs: 44
; NumVgprs: 23
; ScratchSize: 0
; MemoryBound: 0
; FloatMode: 240
; IeeeMode: 1
; LDSByteSize: 320 bytes/workgroup (compile time only)
; SGPRBlocks: 5
; VGPRBlocks: 5
; NumSGPRsForWavesPerEU: 44
; NumVGPRsForWavesPerEU: 23
; Occupancy: 10
; WaveLimiterHint : 1
; COMPUTE_PGM_RSRC2:SCRATCH_EN: 0
; COMPUTE_PGM_RSRC2:USER_SGPR: 6
; COMPUTE_PGM_RSRC2:TRAP_HANDLER: 0
; COMPUTE_PGM_RSRC2:TGID_X_EN: 1
; COMPUTE_PGM_RSRC2:TGID_Y_EN: 1
; COMPUTE_PGM_RSRC2:TGID_Z_EN: 0
; COMPUTE_PGM_RSRC2:TIDIG_COMP_CNT: 1
	.section	.text._ZN9rocsparseL29gebsrmm_small_blockdim_kernelILi2ELi1ELi2ELi16EfEEv20rocsparse_direction_20rocsparse_operation_iiNS_24const_host_device_scalarIT3_EEPKiS7_PKS4_iiS9_lS5_PS4_l21rocsparse_index_base_b,"axG",@progbits,_ZN9rocsparseL29gebsrmm_small_blockdim_kernelILi2ELi1ELi2ELi16EfEEv20rocsparse_direction_20rocsparse_operation_iiNS_24const_host_device_scalarIT3_EEPKiS7_PKS4_iiS9_lS5_PS4_l21rocsparse_index_base_b,comdat
	.globl	_ZN9rocsparseL29gebsrmm_small_blockdim_kernelILi2ELi1ELi2ELi16EfEEv20rocsparse_direction_20rocsparse_operation_iiNS_24const_host_device_scalarIT3_EEPKiS7_PKS4_iiS9_lS5_PS4_l21rocsparse_index_base_b ; -- Begin function _ZN9rocsparseL29gebsrmm_small_blockdim_kernelILi2ELi1ELi2ELi16EfEEv20rocsparse_direction_20rocsparse_operation_iiNS_24const_host_device_scalarIT3_EEPKiS7_PKS4_iiS9_lS5_PS4_l21rocsparse_index_base_b
	.p2align	8
	.type	_ZN9rocsparseL29gebsrmm_small_blockdim_kernelILi2ELi1ELi2ELi16EfEEv20rocsparse_direction_20rocsparse_operation_iiNS_24const_host_device_scalarIT3_EEPKiS7_PKS4_iiS9_lS5_PS4_l21rocsparse_index_base_b,@function
_ZN9rocsparseL29gebsrmm_small_blockdim_kernelILi2ELi1ELi2ELi16EfEEv20rocsparse_direction_20rocsparse_operation_iiNS_24const_host_device_scalarIT3_EEPKiS7_PKS4_iiS9_lS5_PS4_l21rocsparse_index_base_b: ; @_ZN9rocsparseL29gebsrmm_small_blockdim_kernelILi2ELi1ELi2ELi16EfEEv20rocsparse_direction_20rocsparse_operation_iiNS_24const_host_device_scalarIT3_EEPKiS7_PKS4_iiS9_lS5_PS4_l21rocsparse_index_base_b
; %bb.0:
	s_load_dwordx2 s[22:23], s[4:5], 0x60
	s_load_dwordx2 s[20:21], s[4:5], 0x10
	s_load_dwordx4 s[8:11], s[4:5], 0x40
	s_waitcnt lgkmcnt(0)
	s_bitcmp1_b32 s23, 0
	s_cselect_b64 s[2:3], -1, 0
	s_xor_b64 s[0:1], s[2:3], -1
	s_and_b64 vcc, exec, s[2:3]
	s_cbranch_vccnz .LBB3_2
; %bb.1:
	s_load_dword s20, s[20:21], 0x0
.LBB3_2:
	s_andn2_b64 vcc, exec, s[0:1]
	s_cbranch_vccnz .LBB3_4
; %bb.3:
	s_load_dword s10, s[10:11], 0x0
.LBB3_4:
	s_waitcnt lgkmcnt(0)
	v_cmp_eq_f32_e64 s[0:1], s20, 0
	v_cmp_eq_f32_e64 s[2:3], s10, 1.0
	s_and_b64 s[0:1], s[0:1], s[2:3]
	s_mov_b32 s11, 0
	s_and_b64 vcc, exec, s[0:1]
	s_cbranch_vccnz .LBB3_21
; %bb.5:
	s_load_dwordx4 s[16:19], s[4:5], 0x4
	s_mov_b32 s28, 0
	s_waitcnt lgkmcnt(0)
	s_cmp_lt_i32 s6, s17
	s_cselect_b64 s[26:27], -1, 0
	s_cmp_ge_i32 s6, s17
	s_cbranch_scc1 .LBB3_7
; %bb.6:
	s_load_dwordx2 s[2:3], s[4:5], 0x18
	s_mov_b32 s0, s7
	s_ashr_i32 s7, s6, 31
	s_lshl_b64 s[12:13], s[6:7], 2
	s_mov_b32 s7, s0
	s_waitcnt lgkmcnt(0)
	s_add_u32 s0, s2, s12
	s_addc_u32 s1, s3, s13
	s_load_dwordx2 s[2:3], s[0:1], 0x0
	s_waitcnt lgkmcnt(0)
	s_sub_i32 s28, s2, s22
	s_sub_i32 s11, s3, s22
.LBB3_7:
	s_load_dwordx2 s[24:25], s[4:5], 0x50
	v_lshl_add_u32 v2, s7, 4, v1
	v_ashrrev_i32_e32 v3, 31, v2
	v_cmp_gt_i32_e64 s[0:1], s18, v2
	v_cmp_gt_u32_e64 s[2:3], 2, v0
	s_cmp_ge_i32 s28, s11
	v_mov_b32_e32 v6, 0
	s_cbranch_scc1 .LBB3_17
; %bb.8:
	s_load_dwordx4 s[12:15], s[4:5], 0x20
	s_load_dwordx2 s[34:35], s[4:5], 0x38
	v_mul_lo_u32 v9, s9, v2
	v_mul_lo_u32 v12, s8, v3
	v_mad_u64_u32 v[10:11], s[36:37], s8, v2, 0
	v_cmp_eq_u32_e32 vcc, 0, v0
	v_lshlrev_b64 v[4:5], 2, v[2:3]
	s_and_b64 s[18:19], vcc, s[0:1]
	v_cmp_eq_u32_e32 vcc, 0, v1
	s_and_b64 s[30:31], s[2:3], vcc
	s_waitcnt lgkmcnt(0)
	v_mov_b32_e32 v6, s35
	v_add_co_u32_e32 v7, vcc, s34, v4
	v_add3_u32 v11, v11, v12, v9
	v_lshlrev_b32_e32 v4, 1, v1
	v_addc_co_u32_e32 v8, vcc, v6, v5, vcc
	v_add_lshl_u32 v9, v4, v0, 2
	s_cmpk_lg_i32 s16, 0x6f
	v_lshlrev_b64 v[4:5], 2, v[10:11]
	s_cselect_b64 s[16:17], -1, 0
	s_ashr_i32 s29, s28, 31
	v_add_co_u32_e32 v10, vcc, s34, v4
	s_lshl_b64 s[34:35], s[28:29], 2
	v_mov_b32_e32 v4, 0x80
	s_add_u32 s12, s12, s34
	v_addc_co_u32_e32 v11, vcc, v6, v5, vcc
	v_add_u32_e32 v12, 0x80, v9
	v_lshl_or_b32 v13, v0, 2, v4
	v_lshlrev_b32_e32 v1, 3, v1
	s_addc_u32 s13, s13, s35
	v_lshl_add_u32 v4, s28, 1, v0
	v_mov_b32_e32 v6, 0
	s_branch .LBB3_10
.LBB3_9:                                ;   in Loop: Header=BB3_10 Depth=1
	s_or_b64 exec, exec, s[34:35]
	s_waitcnt lgkmcnt(0)
	; wave barrier
	ds_read_b32 v5, v13
	ds_read_b32 v14, v1
	s_add_i32 s28, s28, 1
	s_add_u32 s12, s12, 4
	s_addc_u32 s13, s13, 0
	s_cmp_ge_i32 s28, s11
	s_waitcnt lgkmcnt(0)
	v_fmac_f32_e32 v6, v5, v14
	v_add_u32_e32 v4, 2, v4
	; wave barrier
	s_cbranch_scc1 .LBB3_17
.LBB3_10:                               ; =>This Inner Loop Header: Depth=1
	v_mov_b32_e32 v5, 0
	s_and_saveexec_b64 s[34:35], s[18:19]
	s_cbranch_execz .LBB3_15
; %bb.11:                               ;   in Loop: Header=BB3_10 Depth=1
	s_load_dword s7, s[12:13], 0x0
	s_mov_b64 s[38:39], -1
	s_and_b64 vcc, exec, s[16:17]
                                        ; implicit-def: $vgpr5
	s_waitcnt lgkmcnt(0)
	s_sub_i32 s36, s7, s22
	s_ashr_i32 s37, s36, 31
	s_cbranch_vccz .LBB3_13
; %bb.12:                               ;   in Loop: Header=BB3_10 Depth=1
	s_mul_i32 s7, s8, s37
	s_mul_hi_u32 s21, s8, s36
	s_add_i32 s7, s21, s7
	s_mul_i32 s21, s9, s36
	s_add_i32 s39, s7, s21
	s_mul_i32 s38, s8, s36
	s_lshl_b64 s[38:39], s[38:39], 2
	v_mov_b32_e32 v5, s39
	v_add_co_u32_e32 v14, vcc, s38, v7
	v_addc_co_u32_e32 v15, vcc, v8, v5, vcc
	global_load_dword v5, v[14:15], off
	s_mov_b64 s[38:39], 0
.LBB3_13:                               ;   in Loop: Header=BB3_10 Depth=1
	s_andn2_b64 vcc, exec, s[38:39]
	s_cbranch_vccnz .LBB3_15
; %bb.14:                               ;   in Loop: Header=BB3_10 Depth=1
	s_lshl_b64 s[36:37], s[36:37], 2
	s_waitcnt vmcnt(0)
	v_mov_b32_e32 v5, s37
	v_add_co_u32_e32 v14, vcc, s36, v10
	v_addc_co_u32_e32 v15, vcc, v11, v5, vcc
	global_load_dword v5, v[14:15], off
.LBB3_15:                               ;   in Loop: Header=BB3_10 Depth=1
	s_or_b64 exec, exec, s[34:35]
	s_waitcnt vmcnt(0)
	ds_write_b32 v9, v5
	s_and_saveexec_b64 s[34:35], s[30:31]
	s_cbranch_execz .LBB3_9
; %bb.16:                               ;   in Loop: Header=BB3_10 Depth=1
	v_ashrrev_i32_e32 v5, 31, v4
	v_lshlrev_b64 v[14:15], 2, v[4:5]
	v_mov_b32_e32 v5, s15
	v_add_co_u32_e32 v14, vcc, s14, v14
	v_addc_co_u32_e32 v15, vcc, v5, v15, vcc
	global_load_dword v5, v[14:15], off
	s_waitcnt vmcnt(0)
	ds_write_b32 v12, v5
	s_branch .LBB3_9
.LBB3_17:
	s_and_b64 s[0:1], s[26:27], s[0:1]
	s_and_b64 s[0:1], s[0:1], s[2:3]
	s_and_saveexec_b64 s[2:3], s[0:1]
	s_cbranch_execz .LBB3_21
; %bb.18:
	s_load_dwordx2 s[0:1], s[4:5], 0x58
	v_lshl_add_u32 v0, s6, 1, v0
	v_ashrrev_i32_e32 v1, 31, v0
	s_waitcnt lgkmcnt(0)
	v_mul_lo_u32 v4, s1, v2
	v_mul_lo_u32 v5, s0, v3
	v_mad_u64_u32 v[2:3], s[0:1], s0, v2, 0
	v_cmp_neq_f32_e64 s[0:1], s10, 0
	s_and_b64 vcc, exec, s[0:1]
	v_add3_u32 v3, v3, v5, v4
	v_lshlrev_b64 v[2:3], 2, v[2:3]
	v_mul_f32_e32 v4, s20, v6
	s_cbranch_vccz .LBB3_22
; %bb.19:
	v_mov_b32_e32 v5, s25
	v_add_co_u32_e32 v7, vcc, s24, v2
	v_addc_co_u32_e32 v8, vcc, v5, v3, vcc
	v_lshlrev_b64 v[5:6], 2, v[0:1]
	v_add_co_u32_e32 v5, vcc, v7, v5
	v_addc_co_u32_e32 v6, vcc, v8, v6, vcc
	global_load_dword v7, v[5:6], off
	s_waitcnt vmcnt(0)
	v_fma_f32 v7, s10, v7, v4
	global_store_dword v[5:6], v7, off
	s_cbranch_execnz .LBB3_21
.LBB3_20:
	v_mov_b32_e32 v5, s25
	v_add_co_u32_e32 v2, vcc, s24, v2
	v_lshlrev_b64 v[0:1], 2, v[0:1]
	v_addc_co_u32_e32 v3, vcc, v5, v3, vcc
	v_add_co_u32_e32 v0, vcc, v2, v0
	v_addc_co_u32_e32 v1, vcc, v3, v1, vcc
	global_store_dword v[0:1], v4, off
.LBB3_21:
	s_endpgm
.LBB3_22:
	s_branch .LBB3_20
	.section	.rodata,"a",@progbits
	.p2align	6, 0x0
	.amdhsa_kernel _ZN9rocsparseL29gebsrmm_small_blockdim_kernelILi2ELi1ELi2ELi16EfEEv20rocsparse_direction_20rocsparse_operation_iiNS_24const_host_device_scalarIT3_EEPKiS7_PKS4_iiS9_lS5_PS4_l21rocsparse_index_base_b
		.amdhsa_group_segment_fixed_size 144
		.amdhsa_private_segment_fixed_size 0
		.amdhsa_kernarg_size 104
		.amdhsa_user_sgpr_count 6
		.amdhsa_user_sgpr_private_segment_buffer 1
		.amdhsa_user_sgpr_dispatch_ptr 0
		.amdhsa_user_sgpr_queue_ptr 0
		.amdhsa_user_sgpr_kernarg_segment_ptr 1
		.amdhsa_user_sgpr_dispatch_id 0
		.amdhsa_user_sgpr_flat_scratch_init 0
		.amdhsa_user_sgpr_private_segment_size 0
		.amdhsa_uses_dynamic_stack 0
		.amdhsa_system_sgpr_private_segment_wavefront_offset 0
		.amdhsa_system_sgpr_workgroup_id_x 1
		.amdhsa_system_sgpr_workgroup_id_y 1
		.amdhsa_system_sgpr_workgroup_id_z 0
		.amdhsa_system_sgpr_workgroup_info 0
		.amdhsa_system_vgpr_workitem_id 1
		.amdhsa_next_free_vgpr 16
		.amdhsa_next_free_sgpr 40
		.amdhsa_reserve_vcc 1
		.amdhsa_reserve_flat_scratch 0
		.amdhsa_float_round_mode_32 0
		.amdhsa_float_round_mode_16_64 0
		.amdhsa_float_denorm_mode_32 3
		.amdhsa_float_denorm_mode_16_64 3
		.amdhsa_dx10_clamp 1
		.amdhsa_ieee_mode 1
		.amdhsa_fp16_overflow 0
		.amdhsa_exception_fp_ieee_invalid_op 0
		.amdhsa_exception_fp_denorm_src 0
		.amdhsa_exception_fp_ieee_div_zero 0
		.amdhsa_exception_fp_ieee_overflow 0
		.amdhsa_exception_fp_ieee_underflow 0
		.amdhsa_exception_fp_ieee_inexact 0
		.amdhsa_exception_int_div_zero 0
	.end_amdhsa_kernel
	.section	.text._ZN9rocsparseL29gebsrmm_small_blockdim_kernelILi2ELi1ELi2ELi16EfEEv20rocsparse_direction_20rocsparse_operation_iiNS_24const_host_device_scalarIT3_EEPKiS7_PKS4_iiS9_lS5_PS4_l21rocsparse_index_base_b,"axG",@progbits,_ZN9rocsparseL29gebsrmm_small_blockdim_kernelILi2ELi1ELi2ELi16EfEEv20rocsparse_direction_20rocsparse_operation_iiNS_24const_host_device_scalarIT3_EEPKiS7_PKS4_iiS9_lS5_PS4_l21rocsparse_index_base_b,comdat
.Lfunc_end3:
	.size	_ZN9rocsparseL29gebsrmm_small_blockdim_kernelILi2ELi1ELi2ELi16EfEEv20rocsparse_direction_20rocsparse_operation_iiNS_24const_host_device_scalarIT3_EEPKiS7_PKS4_iiS9_lS5_PS4_l21rocsparse_index_base_b, .Lfunc_end3-_ZN9rocsparseL29gebsrmm_small_blockdim_kernelILi2ELi1ELi2ELi16EfEEv20rocsparse_direction_20rocsparse_operation_iiNS_24const_host_device_scalarIT3_EEPKiS7_PKS4_iiS9_lS5_PS4_l21rocsparse_index_base_b
                                        ; -- End function
	.set _ZN9rocsparseL29gebsrmm_small_blockdim_kernelILi2ELi1ELi2ELi16EfEEv20rocsparse_direction_20rocsparse_operation_iiNS_24const_host_device_scalarIT3_EEPKiS7_PKS4_iiS9_lS5_PS4_l21rocsparse_index_base_b.num_vgpr, 16
	.set _ZN9rocsparseL29gebsrmm_small_blockdim_kernelILi2ELi1ELi2ELi16EfEEv20rocsparse_direction_20rocsparse_operation_iiNS_24const_host_device_scalarIT3_EEPKiS7_PKS4_iiS9_lS5_PS4_l21rocsparse_index_base_b.num_agpr, 0
	.set _ZN9rocsparseL29gebsrmm_small_blockdim_kernelILi2ELi1ELi2ELi16EfEEv20rocsparse_direction_20rocsparse_operation_iiNS_24const_host_device_scalarIT3_EEPKiS7_PKS4_iiS9_lS5_PS4_l21rocsparse_index_base_b.numbered_sgpr, 40
	.set _ZN9rocsparseL29gebsrmm_small_blockdim_kernelILi2ELi1ELi2ELi16EfEEv20rocsparse_direction_20rocsparse_operation_iiNS_24const_host_device_scalarIT3_EEPKiS7_PKS4_iiS9_lS5_PS4_l21rocsparse_index_base_b.num_named_barrier, 0
	.set _ZN9rocsparseL29gebsrmm_small_blockdim_kernelILi2ELi1ELi2ELi16EfEEv20rocsparse_direction_20rocsparse_operation_iiNS_24const_host_device_scalarIT3_EEPKiS7_PKS4_iiS9_lS5_PS4_l21rocsparse_index_base_b.private_seg_size, 0
	.set _ZN9rocsparseL29gebsrmm_small_blockdim_kernelILi2ELi1ELi2ELi16EfEEv20rocsparse_direction_20rocsparse_operation_iiNS_24const_host_device_scalarIT3_EEPKiS7_PKS4_iiS9_lS5_PS4_l21rocsparse_index_base_b.uses_vcc, 1
	.set _ZN9rocsparseL29gebsrmm_small_blockdim_kernelILi2ELi1ELi2ELi16EfEEv20rocsparse_direction_20rocsparse_operation_iiNS_24const_host_device_scalarIT3_EEPKiS7_PKS4_iiS9_lS5_PS4_l21rocsparse_index_base_b.uses_flat_scratch, 0
	.set _ZN9rocsparseL29gebsrmm_small_blockdim_kernelILi2ELi1ELi2ELi16EfEEv20rocsparse_direction_20rocsparse_operation_iiNS_24const_host_device_scalarIT3_EEPKiS7_PKS4_iiS9_lS5_PS4_l21rocsparse_index_base_b.has_dyn_sized_stack, 0
	.set _ZN9rocsparseL29gebsrmm_small_blockdim_kernelILi2ELi1ELi2ELi16EfEEv20rocsparse_direction_20rocsparse_operation_iiNS_24const_host_device_scalarIT3_EEPKiS7_PKS4_iiS9_lS5_PS4_l21rocsparse_index_base_b.has_recursion, 0
	.set _ZN9rocsparseL29gebsrmm_small_blockdim_kernelILi2ELi1ELi2ELi16EfEEv20rocsparse_direction_20rocsparse_operation_iiNS_24const_host_device_scalarIT3_EEPKiS7_PKS4_iiS9_lS5_PS4_l21rocsparse_index_base_b.has_indirect_call, 0
	.section	.AMDGPU.csdata,"",@progbits
; Kernel info:
; codeLenInByte = 892
; TotalNumSgprs: 44
; NumVgprs: 16
; ScratchSize: 0
; MemoryBound: 0
; FloatMode: 240
; IeeeMode: 1
; LDSByteSize: 144 bytes/workgroup (compile time only)
; SGPRBlocks: 5
; VGPRBlocks: 3
; NumSGPRsForWavesPerEU: 44
; NumVGPRsForWavesPerEU: 16
; Occupancy: 10
; WaveLimiterHint : 1
; COMPUTE_PGM_RSRC2:SCRATCH_EN: 0
; COMPUTE_PGM_RSRC2:USER_SGPR: 6
; COMPUTE_PGM_RSRC2:TRAP_HANDLER: 0
; COMPUTE_PGM_RSRC2:TGID_X_EN: 1
; COMPUTE_PGM_RSRC2:TGID_Y_EN: 1
; COMPUTE_PGM_RSRC2:TGID_Z_EN: 0
; COMPUTE_PGM_RSRC2:TIDIG_COMP_CNT: 1
	.section	.text._ZN9rocsparseL29gebsrmm_small_blockdim_kernelILi2ELi3ELi3ELi16EfEEv20rocsparse_direction_20rocsparse_operation_iiNS_24const_host_device_scalarIT3_EEPKiS7_PKS4_iiS9_lS5_PS4_l21rocsparse_index_base_b,"axG",@progbits,_ZN9rocsparseL29gebsrmm_small_blockdim_kernelILi2ELi3ELi3ELi16EfEEv20rocsparse_direction_20rocsparse_operation_iiNS_24const_host_device_scalarIT3_EEPKiS7_PKS4_iiS9_lS5_PS4_l21rocsparse_index_base_b,comdat
	.globl	_ZN9rocsparseL29gebsrmm_small_blockdim_kernelILi2ELi3ELi3ELi16EfEEv20rocsparse_direction_20rocsparse_operation_iiNS_24const_host_device_scalarIT3_EEPKiS7_PKS4_iiS9_lS5_PS4_l21rocsparse_index_base_b ; -- Begin function _ZN9rocsparseL29gebsrmm_small_blockdim_kernelILi2ELi3ELi3ELi16EfEEv20rocsparse_direction_20rocsparse_operation_iiNS_24const_host_device_scalarIT3_EEPKiS7_PKS4_iiS9_lS5_PS4_l21rocsparse_index_base_b
	.p2align	8
	.type	_ZN9rocsparseL29gebsrmm_small_blockdim_kernelILi2ELi3ELi3ELi16EfEEv20rocsparse_direction_20rocsparse_operation_iiNS_24const_host_device_scalarIT3_EEPKiS7_PKS4_iiS9_lS5_PS4_l21rocsparse_index_base_b,@function
_ZN9rocsparseL29gebsrmm_small_blockdim_kernelILi2ELi3ELi3ELi16EfEEv20rocsparse_direction_20rocsparse_operation_iiNS_24const_host_device_scalarIT3_EEPKiS7_PKS4_iiS9_lS5_PS4_l21rocsparse_index_base_b: ; @_ZN9rocsparseL29gebsrmm_small_blockdim_kernelILi2ELi3ELi3ELi16EfEEv20rocsparse_direction_20rocsparse_operation_iiNS_24const_host_device_scalarIT3_EEPKiS7_PKS4_iiS9_lS5_PS4_l21rocsparse_index_base_b
; %bb.0:
	s_load_dwordx2 s[22:23], s[4:5], 0x60
	s_load_dwordx2 s[20:21], s[4:5], 0x10
	s_load_dwordx4 s[8:11], s[4:5], 0x40
	s_waitcnt lgkmcnt(0)
	s_bitcmp1_b32 s23, 0
	s_cselect_b64 s[2:3], -1, 0
	s_xor_b64 s[0:1], s[2:3], -1
	s_and_b64 vcc, exec, s[2:3]
	s_cbranch_vccnz .LBB4_2
; %bb.1:
	s_load_dword s20, s[20:21], 0x0
.LBB4_2:
	s_andn2_b64 vcc, exec, s[0:1]
	s_cbranch_vccnz .LBB4_4
; %bb.3:
	s_load_dword s10, s[10:11], 0x0
.LBB4_4:
	s_waitcnt lgkmcnt(0)
	v_cmp_eq_f32_e64 s[0:1], s20, 0
	v_cmp_eq_f32_e64 s[2:3], s10, 1.0
	s_and_b64 s[0:1], s[0:1], s[2:3]
	s_mov_b32 s11, 0
	s_and_b64 vcc, exec, s[0:1]
	s_cbranch_vccnz .LBB4_21
; %bb.5:
	s_load_dwordx4 s[16:19], s[4:5], 0x0
	s_waitcnt lgkmcnt(0)
	s_cmp_lt_i32 s6, s18
	s_cselect_b64 s[26:27], -1, 0
	s_cmp_ge_i32 s6, s18
	s_mov_b32 s18, 0
	s_cbranch_scc1 .LBB4_7
; %bb.6:
	s_load_dwordx2 s[2:3], s[4:5], 0x18
	s_mov_b32 s0, s7
	s_ashr_i32 s7, s6, 31
	s_lshl_b64 s[12:13], s[6:7], 2
	s_mov_b32 s7, s0
	s_waitcnt lgkmcnt(0)
	s_add_u32 s0, s2, s12
	s_addc_u32 s1, s3, s13
	s_load_dwordx2 s[2:3], s[0:1], 0x0
	s_waitcnt lgkmcnt(0)
	s_sub_i32 s18, s2, s22
	s_sub_i32 s11, s3, s22
.LBB4_7:
	s_load_dwordx2 s[24:25], s[4:5], 0x50
	v_lshl_add_u32 v2, s7, 4, v1
	v_ashrrev_i32_e32 v3, 31, v2
	v_cmp_gt_i32_e64 s[0:1], s19, v2
	v_cmp_gt_u32_e64 s[2:3], 2, v0
	s_cmp_ge_i32 s18, s11
	v_mov_b32_e32 v6, 0
	s_cbranch_scc1 .LBB4_17
; %bb.8:
	s_load_dwordx4 s[12:15], s[4:5], 0x20
	s_load_dwordx2 s[36:37], s[4:5], 0x38
	v_mul_lo_u32 v9, s9, v2
	v_mul_lo_u32 v12, s8, v3
	v_mad_u64_u32 v[10:11], s[34:35], s8, v2, 0
	v_cmp_gt_u32_e32 vcc, 3, v0
	v_lshlrev_b64 v[4:5], 2, v[2:3]
	s_and_b64 s[28:29], s[0:1], vcc
	v_cmp_gt_u32_e32 vcc, 3, v1
	s_and_b64 s[30:31], s[2:3], vcc
	s_waitcnt lgkmcnt(0)
	v_mov_b32_e32 v6, s37
	v_add_co_u32_e32 v7, vcc, s36, v4
	v_add3_u32 v11, v11, v12, v9
	v_addc_co_u32_e32 v8, vcc, v6, v5, vcc
	v_lshlrev_b64 v[4:5], 2, v[10:11]
	v_lshlrev_b32_e32 v14, 2, v0
	v_add_co_u32_e32 v4, vcc, s36, v4
	v_addc_co_u32_e32 v5, vcc, v6, v5, vcc
	s_cmpk_lg_i32 s17, 0x6f
	v_add_co_u32_e32 v10, vcc, v4, v14
	v_mad_u32_u24 v12, v1, 3, v0
	s_cselect_b64 s[34:35], -1, 0
	v_addc_co_u32_e32 v11, vcc, 0, v5, vcc
	s_cmp_eq_u32 s16, 0
	v_sub_u32_e32 v4, v12, v1
	v_mad_u32_u24 v5, v0, 3, v1
	s_cselect_b64 vcc, -1, 0
	v_cndmask_b32_e32 v4, v4, v5, vcc
	s_ashr_i32 s19, s18, 31
	v_mad_u64_u32 v[4:5], s[16:17], s18, 6, v[4:5]
	s_lshl_b64 s[16:17], s[18:19], 2
	v_mul_u32_u24_e32 v13, 3, v1
	v_lshlrev_b32_e32 v9, 2, v12
	s_add_u32 s12, s12, s16
	v_mov_b32_e32 v6, 0
	v_add_u32_e32 v12, 0xc0, v9
	v_add_u32_e32 v1, 0xc0, v14
	v_lshlrev_b32_e32 v13, 2, v13
	s_addc_u32 s13, s13, s17
	s_branch .LBB4_10
.LBB4_9:                                ;   in Loop: Header=BB4_10 Depth=1
	s_or_b64 exec, exec, s[16:17]
	s_waitcnt lgkmcnt(0)
	; wave barrier
	ds_read2_b32 v[14:15], v1 offset1:3
	ds_read2_b32 v[16:17], v13 offset1:1
	ds_read_b32 v5, v13 offset:8
	ds_read_b32 v18, v1 offset:24
	s_add_i32 s18, s18, 1
	s_add_u32 s12, s12, 4
	s_waitcnt lgkmcnt(2)
	v_fmac_f32_e32 v6, v14, v16
	v_fmac_f32_e32 v6, v15, v17
	s_addc_u32 s13, s13, 0
	s_waitcnt lgkmcnt(0)
	v_fmac_f32_e32 v6, v18, v5
	s_cmp_ge_i32 s18, s11
	v_add_u32_e32 v4, 6, v4
	; wave barrier
	s_cbranch_scc1 .LBB4_17
.LBB4_10:                               ; =>This Inner Loop Header: Depth=1
	v_mov_b32_e32 v5, 0
	s_and_saveexec_b64 s[16:17], s[28:29]
	s_cbranch_execz .LBB4_15
; %bb.11:                               ;   in Loop: Header=BB4_10 Depth=1
	s_load_dword s7, s[12:13], 0x0
	s_mov_b64 s[38:39], -1
	s_and_b64 vcc, exec, s[34:35]
                                        ; implicit-def: $vgpr5
	s_waitcnt lgkmcnt(0)
	s_sub_i32 s7, s7, s22
	s_mul_i32 s36, s7, 3
	s_cbranch_vccz .LBB4_13
; %bb.12:                               ;   in Loop: Header=BB4_10 Depth=1
	v_add_u32_e32 v5, s36, v0
	v_ashrrev_i32_e32 v16, 31, v5
	v_mul_lo_u32 v17, s9, v5
	v_mad_u64_u32 v[14:15], s[38:39], s8, v5, 0
	v_mul_lo_u32 v5, s8, v16
	s_mov_b64 s[38:39], 0
	v_add3_u32 v15, v15, v5, v17
	v_lshlrev_b64 v[14:15], 2, v[14:15]
	v_add_co_u32_e32 v14, vcc, v7, v14
	v_addc_co_u32_e32 v15, vcc, v8, v15, vcc
	global_load_dword v5, v[14:15], off
.LBB4_13:                               ;   in Loop: Header=BB4_10 Depth=1
	s_andn2_b64 vcc, exec, s[38:39]
	s_cbranch_vccnz .LBB4_15
; %bb.14:                               ;   in Loop: Header=BB4_10 Depth=1
	s_ashr_i32 s37, s36, 31
	s_lshl_b64 s[36:37], s[36:37], 2
	s_waitcnt vmcnt(0)
	v_mov_b32_e32 v5, s37
	v_add_co_u32_e32 v14, vcc, s36, v10
	v_addc_co_u32_e32 v15, vcc, v11, v5, vcc
	global_load_dword v5, v[14:15], off
.LBB4_15:                               ;   in Loop: Header=BB4_10 Depth=1
	s_or_b64 exec, exec, s[16:17]
	s_waitcnt vmcnt(0)
	ds_write_b32 v9, v5
	s_and_saveexec_b64 s[16:17], s[30:31]
	s_cbranch_execz .LBB4_9
; %bb.16:                               ;   in Loop: Header=BB4_10 Depth=1
	v_ashrrev_i32_e32 v5, 31, v4
	v_lshlrev_b64 v[14:15], 2, v[4:5]
	v_mov_b32_e32 v5, s15
	v_add_co_u32_e32 v14, vcc, s14, v14
	v_addc_co_u32_e32 v15, vcc, v5, v15, vcc
	global_load_dword v5, v[14:15], off
	s_waitcnt vmcnt(0)
	ds_write_b32 v12, v5
	s_branch .LBB4_9
.LBB4_17:
	s_and_b64 s[0:1], s[26:27], s[0:1]
	s_and_b64 s[0:1], s[0:1], s[2:3]
	s_and_saveexec_b64 s[2:3], s[0:1]
	s_cbranch_execz .LBB4_21
; %bb.18:
	s_load_dwordx2 s[0:1], s[4:5], 0x58
	v_lshl_add_u32 v0, s6, 1, v0
	v_ashrrev_i32_e32 v1, 31, v0
	s_waitcnt lgkmcnt(0)
	v_mul_lo_u32 v4, s1, v2
	v_mul_lo_u32 v5, s0, v3
	v_mad_u64_u32 v[2:3], s[0:1], s0, v2, 0
	v_cmp_neq_f32_e64 s[0:1], s10, 0
	s_and_b64 vcc, exec, s[0:1]
	v_add3_u32 v3, v3, v5, v4
	v_lshlrev_b64 v[2:3], 2, v[2:3]
	v_mul_f32_e32 v4, s20, v6
	s_cbranch_vccz .LBB4_22
; %bb.19:
	v_mov_b32_e32 v5, s25
	v_add_co_u32_e32 v7, vcc, s24, v2
	v_addc_co_u32_e32 v8, vcc, v5, v3, vcc
	v_lshlrev_b64 v[5:6], 2, v[0:1]
	v_add_co_u32_e32 v5, vcc, v7, v5
	v_addc_co_u32_e32 v6, vcc, v8, v6, vcc
	global_load_dword v7, v[5:6], off
	s_waitcnt vmcnt(0)
	v_fma_f32 v7, s10, v7, v4
	global_store_dword v[5:6], v7, off
	s_cbranch_execnz .LBB4_21
.LBB4_20:
	v_mov_b32_e32 v5, s25
	v_add_co_u32_e32 v2, vcc, s24, v2
	v_lshlrev_b64 v[0:1], 2, v[0:1]
	v_addc_co_u32_e32 v3, vcc, v5, v3, vcc
	v_add_co_u32_e32 v0, vcc, v2, v0
	v_addc_co_u32_e32 v1, vcc, v3, v1, vcc
	global_store_dword v[0:1], v4, off
.LBB4_21:
	s_endpgm
.LBB4_22:
	s_branch .LBB4_20
	.section	.rodata,"a",@progbits
	.p2align	6, 0x0
	.amdhsa_kernel _ZN9rocsparseL29gebsrmm_small_blockdim_kernelILi2ELi3ELi3ELi16EfEEv20rocsparse_direction_20rocsparse_operation_iiNS_24const_host_device_scalarIT3_EEPKiS7_PKS4_iiS9_lS5_PS4_l21rocsparse_index_base_b
		.amdhsa_group_segment_fixed_size 228
		.amdhsa_private_segment_fixed_size 0
		.amdhsa_kernarg_size 104
		.amdhsa_user_sgpr_count 6
		.amdhsa_user_sgpr_private_segment_buffer 1
		.amdhsa_user_sgpr_dispatch_ptr 0
		.amdhsa_user_sgpr_queue_ptr 0
		.amdhsa_user_sgpr_kernarg_segment_ptr 1
		.amdhsa_user_sgpr_dispatch_id 0
		.amdhsa_user_sgpr_flat_scratch_init 0
		.amdhsa_user_sgpr_private_segment_size 0
		.amdhsa_uses_dynamic_stack 0
		.amdhsa_system_sgpr_private_segment_wavefront_offset 0
		.amdhsa_system_sgpr_workgroup_id_x 1
		.amdhsa_system_sgpr_workgroup_id_y 1
		.amdhsa_system_sgpr_workgroup_id_z 0
		.amdhsa_system_sgpr_workgroup_info 0
		.amdhsa_system_vgpr_workitem_id 1
		.amdhsa_next_free_vgpr 19
		.amdhsa_next_free_sgpr 40
		.amdhsa_reserve_vcc 1
		.amdhsa_reserve_flat_scratch 0
		.amdhsa_float_round_mode_32 0
		.amdhsa_float_round_mode_16_64 0
		.amdhsa_float_denorm_mode_32 3
		.amdhsa_float_denorm_mode_16_64 3
		.amdhsa_dx10_clamp 1
		.amdhsa_ieee_mode 1
		.amdhsa_fp16_overflow 0
		.amdhsa_exception_fp_ieee_invalid_op 0
		.amdhsa_exception_fp_denorm_src 0
		.amdhsa_exception_fp_ieee_div_zero 0
		.amdhsa_exception_fp_ieee_overflow 0
		.amdhsa_exception_fp_ieee_underflow 0
		.amdhsa_exception_fp_ieee_inexact 0
		.amdhsa_exception_int_div_zero 0
	.end_amdhsa_kernel
	.section	.text._ZN9rocsparseL29gebsrmm_small_blockdim_kernelILi2ELi3ELi3ELi16EfEEv20rocsparse_direction_20rocsparse_operation_iiNS_24const_host_device_scalarIT3_EEPKiS7_PKS4_iiS9_lS5_PS4_l21rocsparse_index_base_b,"axG",@progbits,_ZN9rocsparseL29gebsrmm_small_blockdim_kernelILi2ELi3ELi3ELi16EfEEv20rocsparse_direction_20rocsparse_operation_iiNS_24const_host_device_scalarIT3_EEPKiS7_PKS4_iiS9_lS5_PS4_l21rocsparse_index_base_b,comdat
.Lfunc_end4:
	.size	_ZN9rocsparseL29gebsrmm_small_blockdim_kernelILi2ELi3ELi3ELi16EfEEv20rocsparse_direction_20rocsparse_operation_iiNS_24const_host_device_scalarIT3_EEPKiS7_PKS4_iiS9_lS5_PS4_l21rocsparse_index_base_b, .Lfunc_end4-_ZN9rocsparseL29gebsrmm_small_blockdim_kernelILi2ELi3ELi3ELi16EfEEv20rocsparse_direction_20rocsparse_operation_iiNS_24const_host_device_scalarIT3_EEPKiS7_PKS4_iiS9_lS5_PS4_l21rocsparse_index_base_b
                                        ; -- End function
	.set _ZN9rocsparseL29gebsrmm_small_blockdim_kernelILi2ELi3ELi3ELi16EfEEv20rocsparse_direction_20rocsparse_operation_iiNS_24const_host_device_scalarIT3_EEPKiS7_PKS4_iiS9_lS5_PS4_l21rocsparse_index_base_b.num_vgpr, 19
	.set _ZN9rocsparseL29gebsrmm_small_blockdim_kernelILi2ELi3ELi3ELi16EfEEv20rocsparse_direction_20rocsparse_operation_iiNS_24const_host_device_scalarIT3_EEPKiS7_PKS4_iiS9_lS5_PS4_l21rocsparse_index_base_b.num_agpr, 0
	.set _ZN9rocsparseL29gebsrmm_small_blockdim_kernelILi2ELi3ELi3ELi16EfEEv20rocsparse_direction_20rocsparse_operation_iiNS_24const_host_device_scalarIT3_EEPKiS7_PKS4_iiS9_lS5_PS4_l21rocsparse_index_base_b.numbered_sgpr, 40
	.set _ZN9rocsparseL29gebsrmm_small_blockdim_kernelILi2ELi3ELi3ELi16EfEEv20rocsparse_direction_20rocsparse_operation_iiNS_24const_host_device_scalarIT3_EEPKiS7_PKS4_iiS9_lS5_PS4_l21rocsparse_index_base_b.num_named_barrier, 0
	.set _ZN9rocsparseL29gebsrmm_small_blockdim_kernelILi2ELi3ELi3ELi16EfEEv20rocsparse_direction_20rocsparse_operation_iiNS_24const_host_device_scalarIT3_EEPKiS7_PKS4_iiS9_lS5_PS4_l21rocsparse_index_base_b.private_seg_size, 0
	.set _ZN9rocsparseL29gebsrmm_small_blockdim_kernelILi2ELi3ELi3ELi16EfEEv20rocsparse_direction_20rocsparse_operation_iiNS_24const_host_device_scalarIT3_EEPKiS7_PKS4_iiS9_lS5_PS4_l21rocsparse_index_base_b.uses_vcc, 1
	.set _ZN9rocsparseL29gebsrmm_small_blockdim_kernelILi2ELi3ELi3ELi16EfEEv20rocsparse_direction_20rocsparse_operation_iiNS_24const_host_device_scalarIT3_EEPKiS7_PKS4_iiS9_lS5_PS4_l21rocsparse_index_base_b.uses_flat_scratch, 0
	.set _ZN9rocsparseL29gebsrmm_small_blockdim_kernelILi2ELi3ELi3ELi16EfEEv20rocsparse_direction_20rocsparse_operation_iiNS_24const_host_device_scalarIT3_EEPKiS7_PKS4_iiS9_lS5_PS4_l21rocsparse_index_base_b.has_dyn_sized_stack, 0
	.set _ZN9rocsparseL29gebsrmm_small_blockdim_kernelILi2ELi3ELi3ELi16EfEEv20rocsparse_direction_20rocsparse_operation_iiNS_24const_host_device_scalarIT3_EEPKiS7_PKS4_iiS9_lS5_PS4_l21rocsparse_index_base_b.has_recursion, 0
	.set _ZN9rocsparseL29gebsrmm_small_blockdim_kernelILi2ELi3ELi3ELi16EfEEv20rocsparse_direction_20rocsparse_operation_iiNS_24const_host_device_scalarIT3_EEPKiS7_PKS4_iiS9_lS5_PS4_l21rocsparse_index_base_b.has_indirect_call, 0
	.section	.AMDGPU.csdata,"",@progbits
; Kernel info:
; codeLenInByte = 972
; TotalNumSgprs: 44
; NumVgprs: 19
; ScratchSize: 0
; MemoryBound: 0
; FloatMode: 240
; IeeeMode: 1
; LDSByteSize: 228 bytes/workgroup (compile time only)
; SGPRBlocks: 5
; VGPRBlocks: 4
; NumSGPRsForWavesPerEU: 44
; NumVGPRsForWavesPerEU: 19
; Occupancy: 10
; WaveLimiterHint : 1
; COMPUTE_PGM_RSRC2:SCRATCH_EN: 0
; COMPUTE_PGM_RSRC2:USER_SGPR: 6
; COMPUTE_PGM_RSRC2:TRAP_HANDLER: 0
; COMPUTE_PGM_RSRC2:TGID_X_EN: 1
; COMPUTE_PGM_RSRC2:TGID_Y_EN: 1
; COMPUTE_PGM_RSRC2:TGID_Z_EN: 0
; COMPUTE_PGM_RSRC2:TIDIG_COMP_CNT: 1
	.section	.text._ZN9rocsparseL29gebsrmm_small_blockdim_kernelILi2ELi4ELi4ELi16EfEEv20rocsparse_direction_20rocsparse_operation_iiNS_24const_host_device_scalarIT3_EEPKiS7_PKS4_iiS9_lS5_PS4_l21rocsparse_index_base_b,"axG",@progbits,_ZN9rocsparseL29gebsrmm_small_blockdim_kernelILi2ELi4ELi4ELi16EfEEv20rocsparse_direction_20rocsparse_operation_iiNS_24const_host_device_scalarIT3_EEPKiS7_PKS4_iiS9_lS5_PS4_l21rocsparse_index_base_b,comdat
	.globl	_ZN9rocsparseL29gebsrmm_small_blockdim_kernelILi2ELi4ELi4ELi16EfEEv20rocsparse_direction_20rocsparse_operation_iiNS_24const_host_device_scalarIT3_EEPKiS7_PKS4_iiS9_lS5_PS4_l21rocsparse_index_base_b ; -- Begin function _ZN9rocsparseL29gebsrmm_small_blockdim_kernelILi2ELi4ELi4ELi16EfEEv20rocsparse_direction_20rocsparse_operation_iiNS_24const_host_device_scalarIT3_EEPKiS7_PKS4_iiS9_lS5_PS4_l21rocsparse_index_base_b
	.p2align	8
	.type	_ZN9rocsparseL29gebsrmm_small_blockdim_kernelILi2ELi4ELi4ELi16EfEEv20rocsparse_direction_20rocsparse_operation_iiNS_24const_host_device_scalarIT3_EEPKiS7_PKS4_iiS9_lS5_PS4_l21rocsparse_index_base_b,@function
_ZN9rocsparseL29gebsrmm_small_blockdim_kernelILi2ELi4ELi4ELi16EfEEv20rocsparse_direction_20rocsparse_operation_iiNS_24const_host_device_scalarIT3_EEPKiS7_PKS4_iiS9_lS5_PS4_l21rocsparse_index_base_b: ; @_ZN9rocsparseL29gebsrmm_small_blockdim_kernelILi2ELi4ELi4ELi16EfEEv20rocsparse_direction_20rocsparse_operation_iiNS_24const_host_device_scalarIT3_EEPKiS7_PKS4_iiS9_lS5_PS4_l21rocsparse_index_base_b
; %bb.0:
	s_load_dwordx2 s[22:23], s[4:5], 0x60
	s_load_dwordx2 s[20:21], s[4:5], 0x10
	s_load_dwordx4 s[8:11], s[4:5], 0x40
	s_waitcnt lgkmcnt(0)
	s_bitcmp1_b32 s23, 0
	s_cselect_b64 s[2:3], -1, 0
	s_xor_b64 s[0:1], s[2:3], -1
	s_and_b64 vcc, exec, s[2:3]
	s_cbranch_vccnz .LBB5_2
; %bb.1:
	s_load_dword s20, s[20:21], 0x0
.LBB5_2:
	s_andn2_b64 vcc, exec, s[0:1]
	s_cbranch_vccnz .LBB5_4
; %bb.3:
	s_load_dword s10, s[10:11], 0x0
.LBB5_4:
	s_waitcnt lgkmcnt(0)
	v_cmp_eq_f32_e64 s[0:1], s20, 0
	v_cmp_eq_f32_e64 s[2:3], s10, 1.0
	s_and_b64 s[0:1], s[0:1], s[2:3]
	s_mov_b32 s11, 0
	s_and_b64 vcc, exec, s[0:1]
	s_cbranch_vccnz .LBB5_21
; %bb.5:
	s_load_dwordx4 s[16:19], s[4:5], 0x0
	s_waitcnt lgkmcnt(0)
	s_cmp_lt_i32 s6, s18
	s_cselect_b64 s[26:27], -1, 0
	s_cmp_ge_i32 s6, s18
	s_mov_b32 s18, 0
	s_cbranch_scc1 .LBB5_7
; %bb.6:
	s_load_dwordx2 s[2:3], s[4:5], 0x18
	s_mov_b32 s0, s7
	s_ashr_i32 s7, s6, 31
	s_lshl_b64 s[12:13], s[6:7], 2
	s_mov_b32 s7, s0
	s_waitcnt lgkmcnt(0)
	s_add_u32 s0, s2, s12
	s_addc_u32 s1, s3, s13
	s_load_dwordx2 s[2:3], s[0:1], 0x0
	s_waitcnt lgkmcnt(0)
	s_sub_i32 s18, s2, s22
	s_sub_i32 s11, s3, s22
.LBB5_7:
	s_load_dwordx2 s[24:25], s[4:5], 0x50
	v_lshl_add_u32 v2, s7, 4, v1
	v_ashrrev_i32_e32 v3, 31, v2
	v_cmp_gt_i32_e64 s[0:1], s19, v2
	v_cmp_gt_u32_e64 s[2:3], 2, v0
	s_cmp_ge_i32 s18, s11
	v_mov_b32_e32 v6, 0
	s_cbranch_scc1 .LBB5_17
; %bb.8:
	s_load_dwordx4 s[12:15], s[4:5], 0x20
	s_load_dwordx2 s[36:37], s[4:5], 0x38
	v_mul_lo_u32 v9, s9, v2
	v_mul_lo_u32 v12, s8, v3
	v_mad_u64_u32 v[10:11], s[34:35], s8, v2, 0
	v_cmp_gt_u32_e32 vcc, 4, v0
	v_lshlrev_b64 v[4:5], 2, v[2:3]
	s_and_b64 s[28:29], s[0:1], vcc
	v_cmp_gt_u32_e32 vcc, 4, v1
	s_and_b64 s[30:31], s[2:3], vcc
	s_waitcnt lgkmcnt(0)
	v_mov_b32_e32 v6, s37
	v_add_co_u32_e32 v7, vcc, s36, v4
	v_add3_u32 v11, v11, v12, v9
	v_addc_co_u32_e32 v8, vcc, v6, v5, vcc
	v_lshlrev_b64 v[4:5], 2, v[10:11]
	v_lshlrev_b32_e32 v13, 2, v0
	v_add_co_u32_e32 v4, vcc, s36, v4
	v_addc_co_u32_e32 v5, vcc, v6, v5, vcc
	s_cmpk_lg_i32 s17, 0x6f
	v_add_co_u32_e32 v10, vcc, v4, v13
	s_cselect_b64 s[34:35], -1, 0
	v_addc_co_u32_e32 v11, vcc, 0, v5, vcc
	s_cmp_eq_u32 s16, 0
	v_lshl_add_u32 v12, v1, 2, v0
	v_lshlrev_b32_e32 v4, 1, v1
	s_cselect_b64 vcc, -1, 0
	s_ashr_i32 s19, s18, 31
	v_sub_u32_e32 v4, v12, v4
	v_add_u32_e32 v5, v13, v1
	s_lshl_b64 s[16:17], s[18:19], 2
	v_lshlrev_b32_e32 v9, 2, v12
	v_cndmask_b32_e32 v4, v4, v5, vcc
	s_add_u32 s12, s12, s16
	v_mov_b32_e32 v6, 0
	v_add_u32_e32 v12, 0x100, v9
	v_add_u32_e32 v13, 0x100, v13
	v_lshlrev_b32_e32 v1, 4, v1
	s_addc_u32 s13, s13, s17
	v_lshl_add_u32 v4, s18, 3, v4
	s_branch .LBB5_10
.LBB5_9:                                ;   in Loop: Header=BB5_10 Depth=1
	s_or_b64 exec, exec, s[16:17]
	s_waitcnt lgkmcnt(0)
	; wave barrier
	ds_read_b128 v[14:17], v1
	ds_read2_b32 v[18:19], v13 offset1:4
	ds_read2_b32 v[20:21], v13 offset0:8 offset1:12
	s_add_i32 s18, s18, 1
	s_add_u32 s12, s12, 4
	s_addc_u32 s13, s13, 0
	s_waitcnt lgkmcnt(1)
	v_fmac_f32_e32 v6, v18, v14
	v_fmac_f32_e32 v6, v19, v15
	s_waitcnt lgkmcnt(0)
	v_fmac_f32_e32 v6, v20, v16
	v_fmac_f32_e32 v6, v21, v17
	s_cmp_ge_i32 s18, s11
	v_add_u32_e32 v4, 8, v4
	; wave barrier
	s_cbranch_scc1 .LBB5_17
.LBB5_10:                               ; =>This Inner Loop Header: Depth=1
	v_mov_b32_e32 v5, 0
	s_and_saveexec_b64 s[16:17], s[28:29]
	s_cbranch_execz .LBB5_15
; %bb.11:                               ;   in Loop: Header=BB5_10 Depth=1
	s_load_dword s7, s[12:13], 0x0
	s_mov_b64 s[38:39], -1
	s_and_b64 vcc, exec, s[34:35]
                                        ; implicit-def: $vgpr5
	s_waitcnt lgkmcnt(0)
	s_sub_i32 s7, s7, s22
	s_lshl_b32 s36, s7, 2
	s_cbranch_vccz .LBB5_13
; %bb.12:                               ;   in Loop: Header=BB5_10 Depth=1
	v_or_b32_e32 v5, s36, v0
	v_mul_lo_u32 v16, s9, v5
	v_mad_u64_u32 v[14:15], s[38:39], s8, v5, 0
	s_ashr_i32 s7, s36, 31
	s_mul_i32 s7, s8, s7
	v_add3_u32 v15, v15, s7, v16
	v_lshlrev_b64 v[14:15], 2, v[14:15]
	s_mov_b64 s[38:39], 0
	v_add_co_u32_e32 v14, vcc, v7, v14
	v_addc_co_u32_e32 v15, vcc, v8, v15, vcc
	global_load_dword v5, v[14:15], off
.LBB5_13:                               ;   in Loop: Header=BB5_10 Depth=1
	s_andn2_b64 vcc, exec, s[38:39]
	s_cbranch_vccnz .LBB5_15
; %bb.14:                               ;   in Loop: Header=BB5_10 Depth=1
	s_ashr_i32 s37, s36, 31
	s_lshl_b64 s[36:37], s[36:37], 2
	s_waitcnt vmcnt(0)
	v_mov_b32_e32 v5, s37
	v_add_co_u32_e32 v14, vcc, s36, v10
	v_addc_co_u32_e32 v15, vcc, v11, v5, vcc
	global_load_dword v5, v[14:15], off
.LBB5_15:                               ;   in Loop: Header=BB5_10 Depth=1
	s_or_b64 exec, exec, s[16:17]
	s_waitcnt vmcnt(0)
	ds_write_b32 v9, v5
	s_and_saveexec_b64 s[16:17], s[30:31]
	s_cbranch_execz .LBB5_9
; %bb.16:                               ;   in Loop: Header=BB5_10 Depth=1
	v_ashrrev_i32_e32 v5, 31, v4
	v_lshlrev_b64 v[14:15], 2, v[4:5]
	v_mov_b32_e32 v5, s15
	v_add_co_u32_e32 v14, vcc, s14, v14
	v_addc_co_u32_e32 v15, vcc, v5, v15, vcc
	global_load_dword v5, v[14:15], off
	s_waitcnt vmcnt(0)
	ds_write_b32 v12, v5
	s_branch .LBB5_9
.LBB5_17:
	s_and_b64 s[0:1], s[26:27], s[0:1]
	s_and_b64 s[0:1], s[0:1], s[2:3]
	s_and_saveexec_b64 s[2:3], s[0:1]
	s_cbranch_execz .LBB5_21
; %bb.18:
	s_load_dwordx2 s[0:1], s[4:5], 0x58
	v_lshl_add_u32 v0, s6, 1, v0
	v_ashrrev_i32_e32 v1, 31, v0
	s_waitcnt lgkmcnt(0)
	v_mul_lo_u32 v4, s1, v2
	v_mul_lo_u32 v5, s0, v3
	v_mad_u64_u32 v[2:3], s[0:1], s0, v2, 0
	v_cmp_neq_f32_e64 s[0:1], s10, 0
	s_and_b64 vcc, exec, s[0:1]
	v_add3_u32 v3, v3, v5, v4
	v_lshlrev_b64 v[2:3], 2, v[2:3]
	v_mul_f32_e32 v4, s20, v6
	s_cbranch_vccz .LBB5_22
; %bb.19:
	v_mov_b32_e32 v5, s25
	v_add_co_u32_e32 v7, vcc, s24, v2
	v_addc_co_u32_e32 v8, vcc, v5, v3, vcc
	v_lshlrev_b64 v[5:6], 2, v[0:1]
	v_add_co_u32_e32 v5, vcc, v7, v5
	v_addc_co_u32_e32 v6, vcc, v8, v6, vcc
	global_load_dword v7, v[5:6], off
	s_waitcnt vmcnt(0)
	v_fma_f32 v7, s10, v7, v4
	global_store_dword v[5:6], v7, off
	s_cbranch_execnz .LBB5_21
.LBB5_20:
	v_mov_b32_e32 v5, s25
	v_add_co_u32_e32 v2, vcc, s24, v2
	v_lshlrev_b64 v[0:1], 2, v[0:1]
	v_addc_co_u32_e32 v3, vcc, v5, v3, vcc
	v_add_co_u32_e32 v0, vcc, v2, v0
	v_addc_co_u32_e32 v1, vcc, v3, v1, vcc
	global_store_dword v[0:1], v4, off
.LBB5_21:
	s_endpgm
.LBB5_22:
	s_branch .LBB5_20
	.section	.rodata,"a",@progbits
	.p2align	6, 0x0
	.amdhsa_kernel _ZN9rocsparseL29gebsrmm_small_blockdim_kernelILi2ELi4ELi4ELi16EfEEv20rocsparse_direction_20rocsparse_operation_iiNS_24const_host_device_scalarIT3_EEPKiS7_PKS4_iiS9_lS5_PS4_l21rocsparse_index_base_b
		.amdhsa_group_segment_fixed_size 320
		.amdhsa_private_segment_fixed_size 0
		.amdhsa_kernarg_size 104
		.amdhsa_user_sgpr_count 6
		.amdhsa_user_sgpr_private_segment_buffer 1
		.amdhsa_user_sgpr_dispatch_ptr 0
		.amdhsa_user_sgpr_queue_ptr 0
		.amdhsa_user_sgpr_kernarg_segment_ptr 1
		.amdhsa_user_sgpr_dispatch_id 0
		.amdhsa_user_sgpr_flat_scratch_init 0
		.amdhsa_user_sgpr_private_segment_size 0
		.amdhsa_uses_dynamic_stack 0
		.amdhsa_system_sgpr_private_segment_wavefront_offset 0
		.amdhsa_system_sgpr_workgroup_id_x 1
		.amdhsa_system_sgpr_workgroup_id_y 1
		.amdhsa_system_sgpr_workgroup_id_z 0
		.amdhsa_system_sgpr_workgroup_info 0
		.amdhsa_system_vgpr_workitem_id 1
		.amdhsa_next_free_vgpr 22
		.amdhsa_next_free_sgpr 40
		.amdhsa_reserve_vcc 1
		.amdhsa_reserve_flat_scratch 0
		.amdhsa_float_round_mode_32 0
		.amdhsa_float_round_mode_16_64 0
		.amdhsa_float_denorm_mode_32 3
		.amdhsa_float_denorm_mode_16_64 3
		.amdhsa_dx10_clamp 1
		.amdhsa_ieee_mode 1
		.amdhsa_fp16_overflow 0
		.amdhsa_exception_fp_ieee_invalid_op 0
		.amdhsa_exception_fp_denorm_src 0
		.amdhsa_exception_fp_ieee_div_zero 0
		.amdhsa_exception_fp_ieee_overflow 0
		.amdhsa_exception_fp_ieee_underflow 0
		.amdhsa_exception_fp_ieee_inexact 0
		.amdhsa_exception_int_div_zero 0
	.end_amdhsa_kernel
	.section	.text._ZN9rocsparseL29gebsrmm_small_blockdim_kernelILi2ELi4ELi4ELi16EfEEv20rocsparse_direction_20rocsparse_operation_iiNS_24const_host_device_scalarIT3_EEPKiS7_PKS4_iiS9_lS5_PS4_l21rocsparse_index_base_b,"axG",@progbits,_ZN9rocsparseL29gebsrmm_small_blockdim_kernelILi2ELi4ELi4ELi16EfEEv20rocsparse_direction_20rocsparse_operation_iiNS_24const_host_device_scalarIT3_EEPKiS7_PKS4_iiS9_lS5_PS4_l21rocsparse_index_base_b,comdat
.Lfunc_end5:
	.size	_ZN9rocsparseL29gebsrmm_small_blockdim_kernelILi2ELi4ELi4ELi16EfEEv20rocsparse_direction_20rocsparse_operation_iiNS_24const_host_device_scalarIT3_EEPKiS7_PKS4_iiS9_lS5_PS4_l21rocsparse_index_base_b, .Lfunc_end5-_ZN9rocsparseL29gebsrmm_small_blockdim_kernelILi2ELi4ELi4ELi16EfEEv20rocsparse_direction_20rocsparse_operation_iiNS_24const_host_device_scalarIT3_EEPKiS7_PKS4_iiS9_lS5_PS4_l21rocsparse_index_base_b
                                        ; -- End function
	.set _ZN9rocsparseL29gebsrmm_small_blockdim_kernelILi2ELi4ELi4ELi16EfEEv20rocsparse_direction_20rocsparse_operation_iiNS_24const_host_device_scalarIT3_EEPKiS7_PKS4_iiS9_lS5_PS4_l21rocsparse_index_base_b.num_vgpr, 22
	.set _ZN9rocsparseL29gebsrmm_small_blockdim_kernelILi2ELi4ELi4ELi16EfEEv20rocsparse_direction_20rocsparse_operation_iiNS_24const_host_device_scalarIT3_EEPKiS7_PKS4_iiS9_lS5_PS4_l21rocsparse_index_base_b.num_agpr, 0
	.set _ZN9rocsparseL29gebsrmm_small_blockdim_kernelILi2ELi4ELi4ELi16EfEEv20rocsparse_direction_20rocsparse_operation_iiNS_24const_host_device_scalarIT3_EEPKiS7_PKS4_iiS9_lS5_PS4_l21rocsparse_index_base_b.numbered_sgpr, 40
	.set _ZN9rocsparseL29gebsrmm_small_blockdim_kernelILi2ELi4ELi4ELi16EfEEv20rocsparse_direction_20rocsparse_operation_iiNS_24const_host_device_scalarIT3_EEPKiS7_PKS4_iiS9_lS5_PS4_l21rocsparse_index_base_b.num_named_barrier, 0
	.set _ZN9rocsparseL29gebsrmm_small_blockdim_kernelILi2ELi4ELi4ELi16EfEEv20rocsparse_direction_20rocsparse_operation_iiNS_24const_host_device_scalarIT3_EEPKiS7_PKS4_iiS9_lS5_PS4_l21rocsparse_index_base_b.private_seg_size, 0
	.set _ZN9rocsparseL29gebsrmm_small_blockdim_kernelILi2ELi4ELi4ELi16EfEEv20rocsparse_direction_20rocsparse_operation_iiNS_24const_host_device_scalarIT3_EEPKiS7_PKS4_iiS9_lS5_PS4_l21rocsparse_index_base_b.uses_vcc, 1
	.set _ZN9rocsparseL29gebsrmm_small_blockdim_kernelILi2ELi4ELi4ELi16EfEEv20rocsparse_direction_20rocsparse_operation_iiNS_24const_host_device_scalarIT3_EEPKiS7_PKS4_iiS9_lS5_PS4_l21rocsparse_index_base_b.uses_flat_scratch, 0
	.set _ZN9rocsparseL29gebsrmm_small_blockdim_kernelILi2ELi4ELi4ELi16EfEEv20rocsparse_direction_20rocsparse_operation_iiNS_24const_host_device_scalarIT3_EEPKiS7_PKS4_iiS9_lS5_PS4_l21rocsparse_index_base_b.has_dyn_sized_stack, 0
	.set _ZN9rocsparseL29gebsrmm_small_blockdim_kernelILi2ELi4ELi4ELi16EfEEv20rocsparse_direction_20rocsparse_operation_iiNS_24const_host_device_scalarIT3_EEPKiS7_PKS4_iiS9_lS5_PS4_l21rocsparse_index_base_b.has_recursion, 0
	.set _ZN9rocsparseL29gebsrmm_small_blockdim_kernelILi2ELi4ELi4ELi16EfEEv20rocsparse_direction_20rocsparse_operation_iiNS_24const_host_device_scalarIT3_EEPKiS7_PKS4_iiS9_lS5_PS4_l21rocsparse_index_base_b.has_indirect_call, 0
	.section	.AMDGPU.csdata,"",@progbits
; Kernel info:
; codeLenInByte = 960
; TotalNumSgprs: 44
; NumVgprs: 22
; ScratchSize: 0
; MemoryBound: 0
; FloatMode: 240
; IeeeMode: 1
; LDSByteSize: 320 bytes/workgroup (compile time only)
; SGPRBlocks: 5
; VGPRBlocks: 5
; NumSGPRsForWavesPerEU: 44
; NumVGPRsForWavesPerEU: 22
; Occupancy: 10
; WaveLimiterHint : 1
; COMPUTE_PGM_RSRC2:SCRATCH_EN: 0
; COMPUTE_PGM_RSRC2:USER_SGPR: 6
; COMPUTE_PGM_RSRC2:TRAP_HANDLER: 0
; COMPUTE_PGM_RSRC2:TGID_X_EN: 1
; COMPUTE_PGM_RSRC2:TGID_Y_EN: 1
; COMPUTE_PGM_RSRC2:TGID_Z_EN: 0
; COMPUTE_PGM_RSRC2:TIDIG_COMP_CNT: 1
	.section	.text._ZN9rocsparseL29gebsrmm_small_blockdim_kernelILi3ELi1ELi3ELi16EfEEv20rocsparse_direction_20rocsparse_operation_iiNS_24const_host_device_scalarIT3_EEPKiS7_PKS4_iiS9_lS5_PS4_l21rocsparse_index_base_b,"axG",@progbits,_ZN9rocsparseL29gebsrmm_small_blockdim_kernelILi3ELi1ELi3ELi16EfEEv20rocsparse_direction_20rocsparse_operation_iiNS_24const_host_device_scalarIT3_EEPKiS7_PKS4_iiS9_lS5_PS4_l21rocsparse_index_base_b,comdat
	.globl	_ZN9rocsparseL29gebsrmm_small_blockdim_kernelILi3ELi1ELi3ELi16EfEEv20rocsparse_direction_20rocsparse_operation_iiNS_24const_host_device_scalarIT3_EEPKiS7_PKS4_iiS9_lS5_PS4_l21rocsparse_index_base_b ; -- Begin function _ZN9rocsparseL29gebsrmm_small_blockdim_kernelILi3ELi1ELi3ELi16EfEEv20rocsparse_direction_20rocsparse_operation_iiNS_24const_host_device_scalarIT3_EEPKiS7_PKS4_iiS9_lS5_PS4_l21rocsparse_index_base_b
	.p2align	8
	.type	_ZN9rocsparseL29gebsrmm_small_blockdim_kernelILi3ELi1ELi3ELi16EfEEv20rocsparse_direction_20rocsparse_operation_iiNS_24const_host_device_scalarIT3_EEPKiS7_PKS4_iiS9_lS5_PS4_l21rocsparse_index_base_b,@function
_ZN9rocsparseL29gebsrmm_small_blockdim_kernelILi3ELi1ELi3ELi16EfEEv20rocsparse_direction_20rocsparse_operation_iiNS_24const_host_device_scalarIT3_EEPKiS7_PKS4_iiS9_lS5_PS4_l21rocsparse_index_base_b: ; @_ZN9rocsparseL29gebsrmm_small_blockdim_kernelILi3ELi1ELi3ELi16EfEEv20rocsparse_direction_20rocsparse_operation_iiNS_24const_host_device_scalarIT3_EEPKiS7_PKS4_iiS9_lS5_PS4_l21rocsparse_index_base_b
; %bb.0:
	s_load_dwordx2 s[24:25], s[4:5], 0x60
	s_load_dwordx2 s[20:21], s[4:5], 0x10
	s_load_dwordx4 s[8:11], s[4:5], 0x40
	s_waitcnt lgkmcnt(0)
	s_bitcmp1_b32 s25, 0
	s_cselect_b64 s[2:3], -1, 0
	s_xor_b64 s[0:1], s[2:3], -1
	s_and_b64 vcc, exec, s[2:3]
	s_cbranch_vccnz .LBB6_2
; %bb.1:
	s_load_dword s20, s[20:21], 0x0
.LBB6_2:
	s_andn2_b64 vcc, exec, s[0:1]
	s_cbranch_vccnz .LBB6_4
; %bb.3:
	s_load_dword s10, s[10:11], 0x0
.LBB6_4:
	s_waitcnt lgkmcnt(0)
	v_cmp_eq_f32_e64 s[0:1], s20, 0
	v_cmp_eq_f32_e64 s[2:3], s10, 1.0
	s_and_b64 s[0:1], s[0:1], s[2:3]
	s_mov_b32 s11, 0
	s_and_b64 vcc, exec, s[0:1]
	s_cbranch_vccnz .LBB6_21
; %bb.5:
	s_load_dwordx4 s[16:19], s[4:5], 0x4
	s_mov_b32 s28, 0
	s_waitcnt lgkmcnt(0)
	s_cmp_lt_i32 s6, s17
	s_cselect_b64 s[26:27], -1, 0
	s_cmp_ge_i32 s6, s17
	s_cbranch_scc1 .LBB6_7
; %bb.6:
	s_load_dwordx2 s[2:3], s[4:5], 0x18
	s_mov_b32 s0, s7
	s_ashr_i32 s7, s6, 31
	s_lshl_b64 s[12:13], s[6:7], 2
	s_mov_b32 s7, s0
	s_waitcnt lgkmcnt(0)
	s_add_u32 s0, s2, s12
	s_addc_u32 s1, s3, s13
	s_load_dwordx2 s[2:3], s[0:1], 0x0
	s_waitcnt lgkmcnt(0)
	s_sub_i32 s28, s2, s24
	s_sub_i32 s11, s3, s24
.LBB6_7:
	s_load_dwordx2 s[22:23], s[4:5], 0x50
	v_lshl_add_u32 v2, s7, 4, v1
	v_ashrrev_i32_e32 v3, 31, v2
	v_cmp_gt_i32_e64 s[0:1], s18, v2
	v_cmp_gt_u32_e64 s[2:3], 3, v0
	s_cmp_ge_i32 s28, s11
	v_mov_b32_e32 v6, 0
	s_cbranch_scc1 .LBB6_17
; %bb.8:
	s_load_dwordx4 s[12:15], s[4:5], 0x20
	s_load_dwordx2 s[34:35], s[4:5], 0x38
	v_mul_lo_u32 v11, s9, v2
	v_mul_lo_u32 v12, s8, v3
	v_mad_u64_u32 v[9:10], s[36:37], s8, v2, 0
	v_cmp_eq_u32_e32 vcc, 0, v0
	v_lshlrev_b64 v[4:5], 2, v[2:3]
	s_and_b64 s[18:19], vcc, s[0:1]
	v_cmp_eq_u32_e32 vcc, 0, v1
	s_and_b64 s[30:31], s[2:3], vcc
	s_waitcnt lgkmcnt(0)
	v_mov_b32_e32 v6, s35
	v_add_co_u32_e32 v7, vcc, s34, v4
	v_add3_u32 v10, v10, v12, v11
	v_addc_co_u32_e32 v8, vcc, v6, v5, vcc
	v_lshlrev_b64 v[4:5], 2, v[9:10]
	v_mul_u32_u24_e32 v6, 3, v1
	v_add_lshl_u32 v1, v6, v0, 2
	s_cmpk_lg_i32 s16, 0x6f
	v_mov_b32_e32 v10, s35
	v_add_co_u32_e32 v9, vcc, s34, v4
	v_mov_b32_e32 v4, 0xc0
	s_cselect_b64 s[16:17], -1, 0
	v_addc_co_u32_e32 v10, vcc, v10, v5, vcc
	v_lshl_add_u32 v12, v0, 2, v4
	s_ashr_i32 s29, s28, 31
	v_mad_u64_u32 v[4:5], s[36:37], s28, 3, v[0:1]
	s_lshl_b64 s[34:35], s[28:29], 2
	s_add_u32 s12, s12, s34
	v_add_u32_e32 v11, 0xc0, v1
	v_lshlrev_b32_e32 v13, 2, v6
	s_addc_u32 s13, s13, s35
	v_mov_b32_e32 v6, 0
	s_branch .LBB6_10
.LBB6_9:                                ;   in Loop: Header=BB6_10 Depth=1
	s_or_b64 exec, exec, s[34:35]
	s_waitcnt lgkmcnt(0)
	; wave barrier
	ds_read_b32 v5, v12
	ds_read_b32 v14, v13
	s_add_i32 s28, s28, 1
	s_add_u32 s12, s12, 4
	s_addc_u32 s13, s13, 0
	s_cmp_ge_i32 s28, s11
	s_waitcnt lgkmcnt(0)
	v_fmac_f32_e32 v6, v5, v14
	v_add_u32_e32 v4, 3, v4
	; wave barrier
	s_cbranch_scc1 .LBB6_17
.LBB6_10:                               ; =>This Inner Loop Header: Depth=1
	v_mov_b32_e32 v5, 0
	s_and_saveexec_b64 s[34:35], s[18:19]
	s_cbranch_execz .LBB6_15
; %bb.11:                               ;   in Loop: Header=BB6_10 Depth=1
	s_load_dword s7, s[12:13], 0x0
	s_mov_b64 s[38:39], -1
	s_and_b64 vcc, exec, s[16:17]
                                        ; implicit-def: $vgpr5
	s_waitcnt lgkmcnt(0)
	s_sub_i32 s36, s7, s24
	s_ashr_i32 s37, s36, 31
	s_cbranch_vccz .LBB6_13
; %bb.12:                               ;   in Loop: Header=BB6_10 Depth=1
	s_mul_i32 s7, s8, s37
	s_mul_hi_u32 s21, s8, s36
	s_add_i32 s7, s21, s7
	s_mul_i32 s21, s9, s36
	s_add_i32 s39, s7, s21
	s_mul_i32 s38, s8, s36
	s_lshl_b64 s[38:39], s[38:39], 2
	v_mov_b32_e32 v5, s39
	v_add_co_u32_e32 v14, vcc, s38, v7
	v_addc_co_u32_e32 v15, vcc, v8, v5, vcc
	global_load_dword v5, v[14:15], off
	s_mov_b64 s[38:39], 0
.LBB6_13:                               ;   in Loop: Header=BB6_10 Depth=1
	s_andn2_b64 vcc, exec, s[38:39]
	s_cbranch_vccnz .LBB6_15
; %bb.14:                               ;   in Loop: Header=BB6_10 Depth=1
	s_lshl_b64 s[36:37], s[36:37], 2
	s_waitcnt vmcnt(0)
	v_mov_b32_e32 v5, s37
	v_add_co_u32_e32 v14, vcc, s36, v9
	v_addc_co_u32_e32 v15, vcc, v10, v5, vcc
	global_load_dword v5, v[14:15], off
.LBB6_15:                               ;   in Loop: Header=BB6_10 Depth=1
	s_or_b64 exec, exec, s[34:35]
	s_waitcnt vmcnt(0)
	ds_write_b32 v1, v5
	s_and_saveexec_b64 s[34:35], s[30:31]
	s_cbranch_execz .LBB6_9
; %bb.16:                               ;   in Loop: Header=BB6_10 Depth=1
	v_ashrrev_i32_e32 v5, 31, v4
	v_lshlrev_b64 v[14:15], 2, v[4:5]
	v_mov_b32_e32 v5, s15
	v_add_co_u32_e32 v14, vcc, s14, v14
	v_addc_co_u32_e32 v15, vcc, v5, v15, vcc
	global_load_dword v5, v[14:15], off
	s_waitcnt vmcnt(0)
	ds_write_b32 v11, v5
	s_branch .LBB6_9
.LBB6_17:
	s_and_b64 s[0:1], s[26:27], s[0:1]
	s_and_b64 s[0:1], s[0:1], s[2:3]
	s_and_saveexec_b64 s[2:3], s[0:1]
	s_cbranch_execz .LBB6_21
; %bb.18:
	s_load_dwordx2 s[0:1], s[4:5], 0x58
	s_waitcnt lgkmcnt(0)
	v_mul_lo_u32 v4, s1, v2
	v_mul_lo_u32 v5, s0, v3
	v_mad_u64_u32 v[2:3], s[0:1], s0, v2, 0
	v_mad_u64_u32 v[0:1], s[0:1], s6, 3, v[0:1]
	v_add3_u32 v3, v3, v5, v4
	v_cmp_neq_f32_e64 s[0:1], s10, 0
	v_lshlrev_b64 v[2:3], 2, v[2:3]
	s_and_b64 vcc, exec, s[0:1]
	v_ashrrev_i32_e32 v1, 31, v0
	v_mul_f32_e32 v4, s20, v6
	s_cbranch_vccz .LBB6_22
; %bb.19:
	v_mov_b32_e32 v5, s23
	v_add_co_u32_e32 v7, vcc, s22, v2
	v_addc_co_u32_e32 v8, vcc, v5, v3, vcc
	v_lshlrev_b64 v[5:6], 2, v[0:1]
	v_add_co_u32_e32 v5, vcc, v7, v5
	v_addc_co_u32_e32 v6, vcc, v8, v6, vcc
	global_load_dword v7, v[5:6], off
	s_waitcnt vmcnt(0)
	v_fma_f32 v7, s10, v7, v4
	global_store_dword v[5:6], v7, off
	s_cbranch_execnz .LBB6_21
.LBB6_20:
	v_mov_b32_e32 v5, s23
	v_add_co_u32_e32 v2, vcc, s22, v2
	v_lshlrev_b64 v[0:1], 2, v[0:1]
	v_addc_co_u32_e32 v3, vcc, v5, v3, vcc
	v_add_co_u32_e32 v0, vcc, v2, v0
	v_addc_co_u32_e32 v1, vcc, v3, v1, vcc
	global_store_dword v[0:1], v4, off
.LBB6_21:
	s_endpgm
.LBB6_22:
	s_branch .LBB6_20
	.section	.rodata,"a",@progbits
	.p2align	6, 0x0
	.amdhsa_kernel _ZN9rocsparseL29gebsrmm_small_blockdim_kernelILi3ELi1ELi3ELi16EfEEv20rocsparse_direction_20rocsparse_operation_iiNS_24const_host_device_scalarIT3_EEPKiS7_PKS4_iiS9_lS5_PS4_l21rocsparse_index_base_b
		.amdhsa_group_segment_fixed_size 228
		.amdhsa_private_segment_fixed_size 0
		.amdhsa_kernarg_size 104
		.amdhsa_user_sgpr_count 6
		.amdhsa_user_sgpr_private_segment_buffer 1
		.amdhsa_user_sgpr_dispatch_ptr 0
		.amdhsa_user_sgpr_queue_ptr 0
		.amdhsa_user_sgpr_kernarg_segment_ptr 1
		.amdhsa_user_sgpr_dispatch_id 0
		.amdhsa_user_sgpr_flat_scratch_init 0
		.amdhsa_user_sgpr_private_segment_size 0
		.amdhsa_uses_dynamic_stack 0
		.amdhsa_system_sgpr_private_segment_wavefront_offset 0
		.amdhsa_system_sgpr_workgroup_id_x 1
		.amdhsa_system_sgpr_workgroup_id_y 1
		.amdhsa_system_sgpr_workgroup_id_z 0
		.amdhsa_system_sgpr_workgroup_info 0
		.amdhsa_system_vgpr_workitem_id 1
		.amdhsa_next_free_vgpr 16
		.amdhsa_next_free_sgpr 40
		.amdhsa_reserve_vcc 1
		.amdhsa_reserve_flat_scratch 0
		.amdhsa_float_round_mode_32 0
		.amdhsa_float_round_mode_16_64 0
		.amdhsa_float_denorm_mode_32 3
		.amdhsa_float_denorm_mode_16_64 3
		.amdhsa_dx10_clamp 1
		.amdhsa_ieee_mode 1
		.amdhsa_fp16_overflow 0
		.amdhsa_exception_fp_ieee_invalid_op 0
		.amdhsa_exception_fp_denorm_src 0
		.amdhsa_exception_fp_ieee_div_zero 0
		.amdhsa_exception_fp_ieee_overflow 0
		.amdhsa_exception_fp_ieee_underflow 0
		.amdhsa_exception_fp_ieee_inexact 0
		.amdhsa_exception_int_div_zero 0
	.end_amdhsa_kernel
	.section	.text._ZN9rocsparseL29gebsrmm_small_blockdim_kernelILi3ELi1ELi3ELi16EfEEv20rocsparse_direction_20rocsparse_operation_iiNS_24const_host_device_scalarIT3_EEPKiS7_PKS4_iiS9_lS5_PS4_l21rocsparse_index_base_b,"axG",@progbits,_ZN9rocsparseL29gebsrmm_small_blockdim_kernelILi3ELi1ELi3ELi16EfEEv20rocsparse_direction_20rocsparse_operation_iiNS_24const_host_device_scalarIT3_EEPKiS7_PKS4_iiS9_lS5_PS4_l21rocsparse_index_base_b,comdat
.Lfunc_end6:
	.size	_ZN9rocsparseL29gebsrmm_small_blockdim_kernelILi3ELi1ELi3ELi16EfEEv20rocsparse_direction_20rocsparse_operation_iiNS_24const_host_device_scalarIT3_EEPKiS7_PKS4_iiS9_lS5_PS4_l21rocsparse_index_base_b, .Lfunc_end6-_ZN9rocsparseL29gebsrmm_small_blockdim_kernelILi3ELi1ELi3ELi16EfEEv20rocsparse_direction_20rocsparse_operation_iiNS_24const_host_device_scalarIT3_EEPKiS7_PKS4_iiS9_lS5_PS4_l21rocsparse_index_base_b
                                        ; -- End function
	.set _ZN9rocsparseL29gebsrmm_small_blockdim_kernelILi3ELi1ELi3ELi16EfEEv20rocsparse_direction_20rocsparse_operation_iiNS_24const_host_device_scalarIT3_EEPKiS7_PKS4_iiS9_lS5_PS4_l21rocsparse_index_base_b.num_vgpr, 16
	.set _ZN9rocsparseL29gebsrmm_small_blockdim_kernelILi3ELi1ELi3ELi16EfEEv20rocsparse_direction_20rocsparse_operation_iiNS_24const_host_device_scalarIT3_EEPKiS7_PKS4_iiS9_lS5_PS4_l21rocsparse_index_base_b.num_agpr, 0
	.set _ZN9rocsparseL29gebsrmm_small_blockdim_kernelILi3ELi1ELi3ELi16EfEEv20rocsparse_direction_20rocsparse_operation_iiNS_24const_host_device_scalarIT3_EEPKiS7_PKS4_iiS9_lS5_PS4_l21rocsparse_index_base_b.numbered_sgpr, 40
	.set _ZN9rocsparseL29gebsrmm_small_blockdim_kernelILi3ELi1ELi3ELi16EfEEv20rocsparse_direction_20rocsparse_operation_iiNS_24const_host_device_scalarIT3_EEPKiS7_PKS4_iiS9_lS5_PS4_l21rocsparse_index_base_b.num_named_barrier, 0
	.set _ZN9rocsparseL29gebsrmm_small_blockdim_kernelILi3ELi1ELi3ELi16EfEEv20rocsparse_direction_20rocsparse_operation_iiNS_24const_host_device_scalarIT3_EEPKiS7_PKS4_iiS9_lS5_PS4_l21rocsparse_index_base_b.private_seg_size, 0
	.set _ZN9rocsparseL29gebsrmm_small_blockdim_kernelILi3ELi1ELi3ELi16EfEEv20rocsparse_direction_20rocsparse_operation_iiNS_24const_host_device_scalarIT3_EEPKiS7_PKS4_iiS9_lS5_PS4_l21rocsparse_index_base_b.uses_vcc, 1
	.set _ZN9rocsparseL29gebsrmm_small_blockdim_kernelILi3ELi1ELi3ELi16EfEEv20rocsparse_direction_20rocsparse_operation_iiNS_24const_host_device_scalarIT3_EEPKiS7_PKS4_iiS9_lS5_PS4_l21rocsparse_index_base_b.uses_flat_scratch, 0
	.set _ZN9rocsparseL29gebsrmm_small_blockdim_kernelILi3ELi1ELi3ELi16EfEEv20rocsparse_direction_20rocsparse_operation_iiNS_24const_host_device_scalarIT3_EEPKiS7_PKS4_iiS9_lS5_PS4_l21rocsparse_index_base_b.has_dyn_sized_stack, 0
	.set _ZN9rocsparseL29gebsrmm_small_blockdim_kernelILi3ELi1ELi3ELi16EfEEv20rocsparse_direction_20rocsparse_operation_iiNS_24const_host_device_scalarIT3_EEPKiS7_PKS4_iiS9_lS5_PS4_l21rocsparse_index_base_b.has_recursion, 0
	.set _ZN9rocsparseL29gebsrmm_small_blockdim_kernelILi3ELi1ELi3ELi16EfEEv20rocsparse_direction_20rocsparse_operation_iiNS_24const_host_device_scalarIT3_EEPKiS7_PKS4_iiS9_lS5_PS4_l21rocsparse_index_base_b.has_indirect_call, 0
	.section	.AMDGPU.csdata,"",@progbits
; Kernel info:
; codeLenInByte = 896
; TotalNumSgprs: 44
; NumVgprs: 16
; ScratchSize: 0
; MemoryBound: 0
; FloatMode: 240
; IeeeMode: 1
; LDSByteSize: 228 bytes/workgroup (compile time only)
; SGPRBlocks: 5
; VGPRBlocks: 3
; NumSGPRsForWavesPerEU: 44
; NumVGPRsForWavesPerEU: 16
; Occupancy: 10
; WaveLimiterHint : 1
; COMPUTE_PGM_RSRC2:SCRATCH_EN: 0
; COMPUTE_PGM_RSRC2:USER_SGPR: 6
; COMPUTE_PGM_RSRC2:TRAP_HANDLER: 0
; COMPUTE_PGM_RSRC2:TGID_X_EN: 1
; COMPUTE_PGM_RSRC2:TGID_Y_EN: 1
; COMPUTE_PGM_RSRC2:TGID_Z_EN: 0
; COMPUTE_PGM_RSRC2:TIDIG_COMP_CNT: 1
	.section	.text._ZN9rocsparseL29gebsrmm_small_blockdim_kernelILi3ELi2ELi3ELi16EfEEv20rocsparse_direction_20rocsparse_operation_iiNS_24const_host_device_scalarIT3_EEPKiS7_PKS4_iiS9_lS5_PS4_l21rocsparse_index_base_b,"axG",@progbits,_ZN9rocsparseL29gebsrmm_small_blockdim_kernelILi3ELi2ELi3ELi16EfEEv20rocsparse_direction_20rocsparse_operation_iiNS_24const_host_device_scalarIT3_EEPKiS7_PKS4_iiS9_lS5_PS4_l21rocsparse_index_base_b,comdat
	.globl	_ZN9rocsparseL29gebsrmm_small_blockdim_kernelILi3ELi2ELi3ELi16EfEEv20rocsparse_direction_20rocsparse_operation_iiNS_24const_host_device_scalarIT3_EEPKiS7_PKS4_iiS9_lS5_PS4_l21rocsparse_index_base_b ; -- Begin function _ZN9rocsparseL29gebsrmm_small_blockdim_kernelILi3ELi2ELi3ELi16EfEEv20rocsparse_direction_20rocsparse_operation_iiNS_24const_host_device_scalarIT3_EEPKiS7_PKS4_iiS9_lS5_PS4_l21rocsparse_index_base_b
	.p2align	8
	.type	_ZN9rocsparseL29gebsrmm_small_blockdim_kernelILi3ELi2ELi3ELi16EfEEv20rocsparse_direction_20rocsparse_operation_iiNS_24const_host_device_scalarIT3_EEPKiS7_PKS4_iiS9_lS5_PS4_l21rocsparse_index_base_b,@function
_ZN9rocsparseL29gebsrmm_small_blockdim_kernelILi3ELi2ELi3ELi16EfEEv20rocsparse_direction_20rocsparse_operation_iiNS_24const_host_device_scalarIT3_EEPKiS7_PKS4_iiS9_lS5_PS4_l21rocsparse_index_base_b: ; @_ZN9rocsparseL29gebsrmm_small_blockdim_kernelILi3ELi2ELi3ELi16EfEEv20rocsparse_direction_20rocsparse_operation_iiNS_24const_host_device_scalarIT3_EEPKiS7_PKS4_iiS9_lS5_PS4_l21rocsparse_index_base_b
; %bb.0:
	s_load_dwordx2 s[24:25], s[4:5], 0x60
	s_load_dwordx2 s[20:21], s[4:5], 0x10
	s_load_dwordx4 s[8:11], s[4:5], 0x40
	s_waitcnt lgkmcnt(0)
	s_bitcmp1_b32 s25, 0
	s_cselect_b64 s[2:3], -1, 0
	s_xor_b64 s[0:1], s[2:3], -1
	s_and_b64 vcc, exec, s[2:3]
	s_cbranch_vccnz .LBB7_2
; %bb.1:
	s_load_dword s20, s[20:21], 0x0
.LBB7_2:
	s_andn2_b64 vcc, exec, s[0:1]
	s_cbranch_vccnz .LBB7_4
; %bb.3:
	s_load_dword s10, s[10:11], 0x0
.LBB7_4:
	s_waitcnt lgkmcnt(0)
	v_cmp_eq_f32_e64 s[0:1], s20, 0
	v_cmp_eq_f32_e64 s[2:3], s10, 1.0
	s_and_b64 s[0:1], s[0:1], s[2:3]
	s_mov_b32 s11, 0
	s_and_b64 vcc, exec, s[0:1]
	s_cbranch_vccnz .LBB7_21
; %bb.5:
	s_load_dwordx4 s[16:19], s[4:5], 0x0
	s_waitcnt lgkmcnt(0)
	s_cmp_lt_i32 s6, s18
	s_cselect_b64 s[26:27], -1, 0
	s_cmp_ge_i32 s6, s18
	s_mov_b32 s18, 0
	s_cbranch_scc1 .LBB7_7
; %bb.6:
	s_load_dwordx2 s[2:3], s[4:5], 0x18
	s_mov_b32 s0, s7
	s_ashr_i32 s7, s6, 31
	s_lshl_b64 s[12:13], s[6:7], 2
	s_mov_b32 s7, s0
	s_waitcnt lgkmcnt(0)
	s_add_u32 s0, s2, s12
	s_addc_u32 s1, s3, s13
	s_load_dwordx2 s[2:3], s[0:1], 0x0
	s_waitcnt lgkmcnt(0)
	s_sub_i32 s18, s2, s24
	s_sub_i32 s11, s3, s24
.LBB7_7:
	s_load_dwordx2 s[22:23], s[4:5], 0x50
	v_lshl_add_u32 v2, s7, 4, v1
	v_ashrrev_i32_e32 v3, 31, v2
	v_cmp_gt_i32_e64 s[0:1], s19, v2
	v_cmp_gt_u32_e64 s[2:3], 3, v0
	s_cmp_ge_i32 s18, s11
	v_mov_b32_e32 v6, 0
	s_cbranch_scc1 .LBB7_17
; %bb.8:
	s_load_dwordx4 s[12:15], s[4:5], 0x20
	s_load_dwordx2 s[36:37], s[4:5], 0x38
	v_mul_lo_u32 v9, s9, v2
	v_mul_lo_u32 v12, s8, v3
	v_mad_u64_u32 v[10:11], s[34:35], s8, v2, 0
	v_cmp_gt_u32_e32 vcc, 2, v0
	v_lshlrev_b64 v[4:5], 2, v[2:3]
	s_and_b64 s[28:29], s[0:1], vcc
	v_cmp_gt_u32_e32 vcc, 2, v1
	s_and_b64 s[30:31], s[2:3], vcc
	s_waitcnt lgkmcnt(0)
	v_mov_b32_e32 v6, s37
	v_add_co_u32_e32 v7, vcc, s36, v4
	v_add3_u32 v11, v11, v12, v9
	v_addc_co_u32_e32 v8, vcc, v6, v5, vcc
	v_lshlrev_b64 v[4:5], 2, v[10:11]
	v_lshlrev_b32_e32 v15, 2, v0
	v_add_co_u32_e32 v4, vcc, s36, v4
	v_addc_co_u32_e32 v5, vcc, v6, v5, vcc
	s_cmpk_lg_i32 s17, 0x6f
	v_add_co_u32_e32 v10, vcc, v4, v15
	s_cselect_b64 s[34:35], -1, 0
	v_addc_co_u32_e32 v11, vcc, 0, v5, vcc
	s_cmp_eq_u32 s16, 0
	v_mad_u32_u24 v14, v1, 3, v0
	v_lshl_add_u32 v4, v0, 1, v1
	s_cselect_b64 vcc, -1, 0
	v_cndmask_b32_e32 v4, v14, v4, vcc
	s_ashr_i32 s19, s18, 31
	v_mad_u64_u32 v[4:5], s[16:17], s18, 6, v[4:5]
	s_lshl_b64 s[16:17], s[18:19], 2
	v_mul_u32_u24_e32 v13, 3, v1
	v_lshlrev_b32_e32 v9, 2, v14
	s_add_u32 s12, s12, s16
	v_mov_b32_e32 v6, 0
	v_add_u32_e32 v12, 0xc0, v9
	v_add_u32_e32 v1, 0xc0, v15
	v_lshlrev_b32_e32 v13, 2, v13
	s_addc_u32 s13, s13, s17
	s_branch .LBB7_10
.LBB7_9:                                ;   in Loop: Header=BB7_10 Depth=1
	s_or_b64 exec, exec, s[16:17]
	s_waitcnt lgkmcnt(0)
	; wave barrier
	ds_read2_b32 v[14:15], v13 offset1:1
	ds_read2_b32 v[16:17], v1 offset1:3
	s_add_i32 s18, s18, 1
	s_add_u32 s12, s12, 4
	s_addc_u32 s13, s13, 0
	s_cmp_ge_i32 s18, s11
	s_waitcnt lgkmcnt(0)
	v_fmac_f32_e32 v6, v16, v14
	v_fmac_f32_e32 v6, v17, v15
	v_add_u32_e32 v4, 6, v4
	; wave barrier
	s_cbranch_scc1 .LBB7_17
.LBB7_10:                               ; =>This Inner Loop Header: Depth=1
	v_mov_b32_e32 v5, 0
	s_and_saveexec_b64 s[16:17], s[28:29]
	s_cbranch_execz .LBB7_15
; %bb.11:                               ;   in Loop: Header=BB7_10 Depth=1
	s_load_dword s7, s[12:13], 0x0
	s_mov_b64 s[38:39], -1
	s_and_b64 vcc, exec, s[34:35]
                                        ; implicit-def: $vgpr5
	s_waitcnt lgkmcnt(0)
	s_sub_i32 s7, s7, s24
	s_lshl_b32 s36, s7, 1
	s_cbranch_vccz .LBB7_13
; %bb.12:                               ;   in Loop: Header=BB7_10 Depth=1
	v_or_b32_e32 v5, s36, v0
	v_mul_lo_u32 v16, s9, v5
	v_mad_u64_u32 v[14:15], s[38:39], s8, v5, 0
	s_ashr_i32 s7, s36, 31
	s_mul_i32 s7, s8, s7
	v_add3_u32 v15, v15, s7, v16
	v_lshlrev_b64 v[14:15], 2, v[14:15]
	s_mov_b64 s[38:39], 0
	v_add_co_u32_e32 v14, vcc, v7, v14
	v_addc_co_u32_e32 v15, vcc, v8, v15, vcc
	global_load_dword v5, v[14:15], off
.LBB7_13:                               ;   in Loop: Header=BB7_10 Depth=1
	s_andn2_b64 vcc, exec, s[38:39]
	s_cbranch_vccnz .LBB7_15
; %bb.14:                               ;   in Loop: Header=BB7_10 Depth=1
	s_ashr_i32 s37, s36, 31
	s_lshl_b64 s[36:37], s[36:37], 2
	s_waitcnt vmcnt(0)
	v_mov_b32_e32 v5, s37
	v_add_co_u32_e32 v14, vcc, s36, v10
	v_addc_co_u32_e32 v15, vcc, v11, v5, vcc
	global_load_dword v5, v[14:15], off
.LBB7_15:                               ;   in Loop: Header=BB7_10 Depth=1
	s_or_b64 exec, exec, s[16:17]
	s_waitcnt vmcnt(0)
	ds_write_b32 v9, v5
	s_and_saveexec_b64 s[16:17], s[30:31]
	s_cbranch_execz .LBB7_9
; %bb.16:                               ;   in Loop: Header=BB7_10 Depth=1
	v_ashrrev_i32_e32 v5, 31, v4
	v_lshlrev_b64 v[14:15], 2, v[4:5]
	v_mov_b32_e32 v5, s15
	v_add_co_u32_e32 v14, vcc, s14, v14
	v_addc_co_u32_e32 v15, vcc, v5, v15, vcc
	global_load_dword v5, v[14:15], off
	s_waitcnt vmcnt(0)
	ds_write_b32 v12, v5
	s_branch .LBB7_9
.LBB7_17:
	s_and_b64 s[0:1], s[26:27], s[0:1]
	s_and_b64 s[0:1], s[0:1], s[2:3]
	s_and_saveexec_b64 s[2:3], s[0:1]
	s_cbranch_execz .LBB7_21
; %bb.18:
	s_load_dwordx2 s[0:1], s[4:5], 0x58
	s_waitcnt lgkmcnt(0)
	v_mul_lo_u32 v4, s1, v2
	v_mul_lo_u32 v5, s0, v3
	v_mad_u64_u32 v[2:3], s[0:1], s0, v2, 0
	v_mad_u64_u32 v[0:1], s[0:1], s6, 3, v[0:1]
	v_add3_u32 v3, v3, v5, v4
	v_cmp_neq_f32_e64 s[0:1], s10, 0
	v_lshlrev_b64 v[2:3], 2, v[2:3]
	s_and_b64 vcc, exec, s[0:1]
	v_ashrrev_i32_e32 v1, 31, v0
	v_mul_f32_e32 v4, s20, v6
	s_cbranch_vccz .LBB7_22
; %bb.19:
	v_mov_b32_e32 v5, s23
	v_add_co_u32_e32 v7, vcc, s22, v2
	v_addc_co_u32_e32 v8, vcc, v5, v3, vcc
	v_lshlrev_b64 v[5:6], 2, v[0:1]
	v_add_co_u32_e32 v5, vcc, v7, v5
	v_addc_co_u32_e32 v6, vcc, v8, v6, vcc
	global_load_dword v7, v[5:6], off
	s_waitcnt vmcnt(0)
	v_fma_f32 v7, s10, v7, v4
	global_store_dword v[5:6], v7, off
	s_cbranch_execnz .LBB7_21
.LBB7_20:
	v_mov_b32_e32 v5, s23
	v_add_co_u32_e32 v2, vcc, s22, v2
	v_lshlrev_b64 v[0:1], 2, v[0:1]
	v_addc_co_u32_e32 v3, vcc, v5, v3, vcc
	v_add_co_u32_e32 v0, vcc, v2, v0
	v_addc_co_u32_e32 v1, vcc, v3, v1, vcc
	global_store_dword v[0:1], v4, off
.LBB7_21:
	s_endpgm
.LBB7_22:
	s_branch .LBB7_20
	.section	.rodata,"a",@progbits
	.p2align	6, 0x0
	.amdhsa_kernel _ZN9rocsparseL29gebsrmm_small_blockdim_kernelILi3ELi2ELi3ELi16EfEEv20rocsparse_direction_20rocsparse_operation_iiNS_24const_host_device_scalarIT3_EEPKiS7_PKS4_iiS9_lS5_PS4_l21rocsparse_index_base_b
		.amdhsa_group_segment_fixed_size 228
		.amdhsa_private_segment_fixed_size 0
		.amdhsa_kernarg_size 104
		.amdhsa_user_sgpr_count 6
		.amdhsa_user_sgpr_private_segment_buffer 1
		.amdhsa_user_sgpr_dispatch_ptr 0
		.amdhsa_user_sgpr_queue_ptr 0
		.amdhsa_user_sgpr_kernarg_segment_ptr 1
		.amdhsa_user_sgpr_dispatch_id 0
		.amdhsa_user_sgpr_flat_scratch_init 0
		.amdhsa_user_sgpr_private_segment_size 0
		.amdhsa_uses_dynamic_stack 0
		.amdhsa_system_sgpr_private_segment_wavefront_offset 0
		.amdhsa_system_sgpr_workgroup_id_x 1
		.amdhsa_system_sgpr_workgroup_id_y 1
		.amdhsa_system_sgpr_workgroup_id_z 0
		.amdhsa_system_sgpr_workgroup_info 0
		.amdhsa_system_vgpr_workitem_id 1
		.amdhsa_next_free_vgpr 18
		.amdhsa_next_free_sgpr 40
		.amdhsa_reserve_vcc 1
		.amdhsa_reserve_flat_scratch 0
		.amdhsa_float_round_mode_32 0
		.amdhsa_float_round_mode_16_64 0
		.amdhsa_float_denorm_mode_32 3
		.amdhsa_float_denorm_mode_16_64 3
		.amdhsa_dx10_clamp 1
		.amdhsa_ieee_mode 1
		.amdhsa_fp16_overflow 0
		.amdhsa_exception_fp_ieee_invalid_op 0
		.amdhsa_exception_fp_denorm_src 0
		.amdhsa_exception_fp_ieee_div_zero 0
		.amdhsa_exception_fp_ieee_overflow 0
		.amdhsa_exception_fp_ieee_underflow 0
		.amdhsa_exception_fp_ieee_inexact 0
		.amdhsa_exception_int_div_zero 0
	.end_amdhsa_kernel
	.section	.text._ZN9rocsparseL29gebsrmm_small_blockdim_kernelILi3ELi2ELi3ELi16EfEEv20rocsparse_direction_20rocsparse_operation_iiNS_24const_host_device_scalarIT3_EEPKiS7_PKS4_iiS9_lS5_PS4_l21rocsparse_index_base_b,"axG",@progbits,_ZN9rocsparseL29gebsrmm_small_blockdim_kernelILi3ELi2ELi3ELi16EfEEv20rocsparse_direction_20rocsparse_operation_iiNS_24const_host_device_scalarIT3_EEPKiS7_PKS4_iiS9_lS5_PS4_l21rocsparse_index_base_b,comdat
.Lfunc_end7:
	.size	_ZN9rocsparseL29gebsrmm_small_blockdim_kernelILi3ELi2ELi3ELi16EfEEv20rocsparse_direction_20rocsparse_operation_iiNS_24const_host_device_scalarIT3_EEPKiS7_PKS4_iiS9_lS5_PS4_l21rocsparse_index_base_b, .Lfunc_end7-_ZN9rocsparseL29gebsrmm_small_blockdim_kernelILi3ELi2ELi3ELi16EfEEv20rocsparse_direction_20rocsparse_operation_iiNS_24const_host_device_scalarIT3_EEPKiS7_PKS4_iiS9_lS5_PS4_l21rocsparse_index_base_b
                                        ; -- End function
	.set _ZN9rocsparseL29gebsrmm_small_blockdim_kernelILi3ELi2ELi3ELi16EfEEv20rocsparse_direction_20rocsparse_operation_iiNS_24const_host_device_scalarIT3_EEPKiS7_PKS4_iiS9_lS5_PS4_l21rocsparse_index_base_b.num_vgpr, 18
	.set _ZN9rocsparseL29gebsrmm_small_blockdim_kernelILi3ELi2ELi3ELi16EfEEv20rocsparse_direction_20rocsparse_operation_iiNS_24const_host_device_scalarIT3_EEPKiS7_PKS4_iiS9_lS5_PS4_l21rocsparse_index_base_b.num_agpr, 0
	.set _ZN9rocsparseL29gebsrmm_small_blockdim_kernelILi3ELi2ELi3ELi16EfEEv20rocsparse_direction_20rocsparse_operation_iiNS_24const_host_device_scalarIT3_EEPKiS7_PKS4_iiS9_lS5_PS4_l21rocsparse_index_base_b.numbered_sgpr, 40
	.set _ZN9rocsparseL29gebsrmm_small_blockdim_kernelILi3ELi2ELi3ELi16EfEEv20rocsparse_direction_20rocsparse_operation_iiNS_24const_host_device_scalarIT3_EEPKiS7_PKS4_iiS9_lS5_PS4_l21rocsparse_index_base_b.num_named_barrier, 0
	.set _ZN9rocsparseL29gebsrmm_small_blockdim_kernelILi3ELi2ELi3ELi16EfEEv20rocsparse_direction_20rocsparse_operation_iiNS_24const_host_device_scalarIT3_EEPKiS7_PKS4_iiS9_lS5_PS4_l21rocsparse_index_base_b.private_seg_size, 0
	.set _ZN9rocsparseL29gebsrmm_small_blockdim_kernelILi3ELi2ELi3ELi16EfEEv20rocsparse_direction_20rocsparse_operation_iiNS_24const_host_device_scalarIT3_EEPKiS7_PKS4_iiS9_lS5_PS4_l21rocsparse_index_base_b.uses_vcc, 1
	.set _ZN9rocsparseL29gebsrmm_small_blockdim_kernelILi3ELi2ELi3ELi16EfEEv20rocsparse_direction_20rocsparse_operation_iiNS_24const_host_device_scalarIT3_EEPKiS7_PKS4_iiS9_lS5_PS4_l21rocsparse_index_base_b.uses_flat_scratch, 0
	.set _ZN9rocsparseL29gebsrmm_small_blockdim_kernelILi3ELi2ELi3ELi16EfEEv20rocsparse_direction_20rocsparse_operation_iiNS_24const_host_device_scalarIT3_EEPKiS7_PKS4_iiS9_lS5_PS4_l21rocsparse_index_base_b.has_dyn_sized_stack, 0
	.set _ZN9rocsparseL29gebsrmm_small_blockdim_kernelILi3ELi2ELi3ELi16EfEEv20rocsparse_direction_20rocsparse_operation_iiNS_24const_host_device_scalarIT3_EEPKiS7_PKS4_iiS9_lS5_PS4_l21rocsparse_index_base_b.has_recursion, 0
	.set _ZN9rocsparseL29gebsrmm_small_blockdim_kernelILi3ELi2ELi3ELi16EfEEv20rocsparse_direction_20rocsparse_operation_iiNS_24const_host_device_scalarIT3_EEPKiS7_PKS4_iiS9_lS5_PS4_l21rocsparse_index_base_b.has_indirect_call, 0
	.section	.AMDGPU.csdata,"",@progbits
; Kernel info:
; codeLenInByte = 940
; TotalNumSgprs: 44
; NumVgprs: 18
; ScratchSize: 0
; MemoryBound: 0
; FloatMode: 240
; IeeeMode: 1
; LDSByteSize: 228 bytes/workgroup (compile time only)
; SGPRBlocks: 5
; VGPRBlocks: 4
; NumSGPRsForWavesPerEU: 44
; NumVGPRsForWavesPerEU: 18
; Occupancy: 10
; WaveLimiterHint : 1
; COMPUTE_PGM_RSRC2:SCRATCH_EN: 0
; COMPUTE_PGM_RSRC2:USER_SGPR: 6
; COMPUTE_PGM_RSRC2:TRAP_HANDLER: 0
; COMPUTE_PGM_RSRC2:TGID_X_EN: 1
; COMPUTE_PGM_RSRC2:TGID_Y_EN: 1
; COMPUTE_PGM_RSRC2:TGID_Z_EN: 0
; COMPUTE_PGM_RSRC2:TIDIG_COMP_CNT: 1
	.section	.text._ZN9rocsparseL29gebsrmm_small_blockdim_kernelILi3ELi4ELi4ELi16EfEEv20rocsparse_direction_20rocsparse_operation_iiNS_24const_host_device_scalarIT3_EEPKiS7_PKS4_iiS9_lS5_PS4_l21rocsparse_index_base_b,"axG",@progbits,_ZN9rocsparseL29gebsrmm_small_blockdim_kernelILi3ELi4ELi4ELi16EfEEv20rocsparse_direction_20rocsparse_operation_iiNS_24const_host_device_scalarIT3_EEPKiS7_PKS4_iiS9_lS5_PS4_l21rocsparse_index_base_b,comdat
	.globl	_ZN9rocsparseL29gebsrmm_small_blockdim_kernelILi3ELi4ELi4ELi16EfEEv20rocsparse_direction_20rocsparse_operation_iiNS_24const_host_device_scalarIT3_EEPKiS7_PKS4_iiS9_lS5_PS4_l21rocsparse_index_base_b ; -- Begin function _ZN9rocsparseL29gebsrmm_small_blockdim_kernelILi3ELi4ELi4ELi16EfEEv20rocsparse_direction_20rocsparse_operation_iiNS_24const_host_device_scalarIT3_EEPKiS7_PKS4_iiS9_lS5_PS4_l21rocsparse_index_base_b
	.p2align	8
	.type	_ZN9rocsparseL29gebsrmm_small_blockdim_kernelILi3ELi4ELi4ELi16EfEEv20rocsparse_direction_20rocsparse_operation_iiNS_24const_host_device_scalarIT3_EEPKiS7_PKS4_iiS9_lS5_PS4_l21rocsparse_index_base_b,@function
_ZN9rocsparseL29gebsrmm_small_blockdim_kernelILi3ELi4ELi4ELi16EfEEv20rocsparse_direction_20rocsparse_operation_iiNS_24const_host_device_scalarIT3_EEPKiS7_PKS4_iiS9_lS5_PS4_l21rocsparse_index_base_b: ; @_ZN9rocsparseL29gebsrmm_small_blockdim_kernelILi3ELi4ELi4ELi16EfEEv20rocsparse_direction_20rocsparse_operation_iiNS_24const_host_device_scalarIT3_EEPKiS7_PKS4_iiS9_lS5_PS4_l21rocsparse_index_base_b
; %bb.0:
	s_load_dwordx2 s[24:25], s[4:5], 0x60
	s_load_dwordx2 s[20:21], s[4:5], 0x10
	s_load_dwordx4 s[8:11], s[4:5], 0x40
	s_waitcnt lgkmcnt(0)
	s_bitcmp1_b32 s25, 0
	s_cselect_b64 s[2:3], -1, 0
	s_xor_b64 s[0:1], s[2:3], -1
	s_and_b64 vcc, exec, s[2:3]
	s_cbranch_vccnz .LBB8_2
; %bb.1:
	s_load_dword s20, s[20:21], 0x0
.LBB8_2:
	s_andn2_b64 vcc, exec, s[0:1]
	s_cbranch_vccnz .LBB8_4
; %bb.3:
	s_load_dword s10, s[10:11], 0x0
.LBB8_4:
	s_waitcnt lgkmcnt(0)
	v_cmp_eq_f32_e64 s[0:1], s20, 0
	v_cmp_eq_f32_e64 s[2:3], s10, 1.0
	s_and_b64 s[0:1], s[0:1], s[2:3]
	s_mov_b32 s11, 0
	s_and_b64 vcc, exec, s[0:1]
	s_cbranch_vccnz .LBB8_21
; %bb.5:
	s_load_dwordx4 s[16:19], s[4:5], 0x0
	s_waitcnt lgkmcnt(0)
	s_cmp_lt_i32 s6, s18
	s_cselect_b64 s[26:27], -1, 0
	s_cmp_ge_i32 s6, s18
	s_mov_b32 s18, 0
	s_cbranch_scc1 .LBB8_7
; %bb.6:
	s_load_dwordx2 s[2:3], s[4:5], 0x18
	s_mov_b32 s0, s7
	s_ashr_i32 s7, s6, 31
	s_lshl_b64 s[12:13], s[6:7], 2
	s_mov_b32 s7, s0
	s_waitcnt lgkmcnt(0)
	s_add_u32 s0, s2, s12
	s_addc_u32 s1, s3, s13
	s_load_dwordx2 s[2:3], s[0:1], 0x0
	s_waitcnt lgkmcnt(0)
	s_sub_i32 s18, s2, s24
	s_sub_i32 s11, s3, s24
.LBB8_7:
	s_load_dwordx2 s[22:23], s[4:5], 0x50
	v_lshl_add_u32 v2, s7, 4, v1
	v_ashrrev_i32_e32 v3, 31, v2
	v_cmp_gt_i32_e64 s[0:1], s19, v2
	v_cmp_gt_u32_e64 s[2:3], 3, v0
	s_cmp_ge_i32 s18, s11
	v_mov_b32_e32 v6, 0
	s_cbranch_scc1 .LBB8_17
; %bb.8:
	s_load_dwordx4 s[12:15], s[4:5], 0x20
	s_load_dwordx2 s[36:37], s[4:5], 0x38
	v_mul_lo_u32 v9, s9, v2
	v_mul_lo_u32 v12, s8, v3
	v_mad_u64_u32 v[10:11], s[34:35], s8, v2, 0
	v_cmp_gt_u32_e32 vcc, 4, v0
	v_lshlrev_b64 v[4:5], 2, v[2:3]
	s_and_b64 s[28:29], s[0:1], vcc
	v_cmp_gt_u32_e32 vcc, 4, v1
	s_and_b64 s[30:31], s[2:3], vcc
	s_waitcnt lgkmcnt(0)
	v_mov_b32_e32 v6, s37
	v_add_co_u32_e32 v7, vcc, s36, v4
	v_add3_u32 v11, v11, v12, v9
	v_addc_co_u32_e32 v8, vcc, v6, v5, vcc
	v_lshlrev_b64 v[4:5], 2, v[10:11]
	v_lshlrev_b32_e32 v13, 2, v0
	v_add_co_u32_e32 v4, vcc, s36, v4
	v_addc_co_u32_e32 v5, vcc, v6, v5, vcc
	s_cmpk_lg_i32 s17, 0x6f
	v_add_co_u32_e32 v10, vcc, v4, v13
	v_lshl_add_u32 v12, v1, 2, v0
	s_cselect_b64 s[34:35], -1, 0
	v_addc_co_u32_e32 v11, vcc, 0, v5, vcc
	s_cmp_eq_u32 s16, 0
	v_sub_u32_e32 v4, v12, v1
	v_add_u32_e32 v5, v13, v1
	s_cselect_b64 vcc, -1, 0
	v_cndmask_b32_e32 v4, v4, v5, vcc
	s_ashr_i32 s19, s18, 31
	v_mad_u64_u32 v[4:5], s[16:17], s18, 12, v[4:5]
	s_lshl_b64 s[16:17], s[18:19], 2
	v_lshlrev_b32_e32 v9, 2, v12
	s_add_u32 s12, s12, s16
	v_mov_b32_e32 v6, 0
	v_add_u32_e32 v12, 0x100, v9
	v_add_u32_e32 v13, 0x100, v13
	v_lshlrev_b32_e32 v1, 4, v1
	s_addc_u32 s13, s13, s17
	s_branch .LBB8_10
.LBB8_9:                                ;   in Loop: Header=BB8_10 Depth=1
	s_or_b64 exec, exec, s[16:17]
	s_waitcnt lgkmcnt(0)
	; wave barrier
	ds_read_b128 v[14:17], v1
	ds_read2_b32 v[18:19], v13 offset1:4
	ds_read2_b32 v[20:21], v13 offset0:8 offset1:12
	s_add_i32 s18, s18, 1
	s_add_u32 s12, s12, 4
	s_addc_u32 s13, s13, 0
	s_waitcnt lgkmcnt(1)
	v_fmac_f32_e32 v6, v18, v14
	v_fmac_f32_e32 v6, v19, v15
	s_waitcnt lgkmcnt(0)
	v_fmac_f32_e32 v6, v20, v16
	v_fmac_f32_e32 v6, v21, v17
	s_cmp_ge_i32 s18, s11
	v_add_u32_e32 v4, 12, v4
	; wave barrier
	s_cbranch_scc1 .LBB8_17
.LBB8_10:                               ; =>This Inner Loop Header: Depth=1
	v_mov_b32_e32 v5, 0
	s_and_saveexec_b64 s[16:17], s[28:29]
	s_cbranch_execz .LBB8_15
; %bb.11:                               ;   in Loop: Header=BB8_10 Depth=1
	s_load_dword s7, s[12:13], 0x0
	s_mov_b64 s[38:39], -1
	s_and_b64 vcc, exec, s[34:35]
                                        ; implicit-def: $vgpr5
	s_waitcnt lgkmcnt(0)
	s_sub_i32 s7, s7, s24
	s_lshl_b32 s36, s7, 2
	s_cbranch_vccz .LBB8_13
; %bb.12:                               ;   in Loop: Header=BB8_10 Depth=1
	v_or_b32_e32 v5, s36, v0
	v_mul_lo_u32 v16, s9, v5
	v_mad_u64_u32 v[14:15], s[38:39], s8, v5, 0
	s_ashr_i32 s7, s36, 31
	s_mul_i32 s7, s8, s7
	v_add3_u32 v15, v15, s7, v16
	v_lshlrev_b64 v[14:15], 2, v[14:15]
	s_mov_b64 s[38:39], 0
	v_add_co_u32_e32 v14, vcc, v7, v14
	v_addc_co_u32_e32 v15, vcc, v8, v15, vcc
	global_load_dword v5, v[14:15], off
.LBB8_13:                               ;   in Loop: Header=BB8_10 Depth=1
	s_andn2_b64 vcc, exec, s[38:39]
	s_cbranch_vccnz .LBB8_15
; %bb.14:                               ;   in Loop: Header=BB8_10 Depth=1
	s_ashr_i32 s37, s36, 31
	s_lshl_b64 s[36:37], s[36:37], 2
	s_waitcnt vmcnt(0)
	v_mov_b32_e32 v5, s37
	v_add_co_u32_e32 v14, vcc, s36, v10
	v_addc_co_u32_e32 v15, vcc, v11, v5, vcc
	global_load_dword v5, v[14:15], off
.LBB8_15:                               ;   in Loop: Header=BB8_10 Depth=1
	s_or_b64 exec, exec, s[16:17]
	s_waitcnt vmcnt(0)
	ds_write_b32 v9, v5
	s_and_saveexec_b64 s[16:17], s[30:31]
	s_cbranch_execz .LBB8_9
; %bb.16:                               ;   in Loop: Header=BB8_10 Depth=1
	v_ashrrev_i32_e32 v5, 31, v4
	v_lshlrev_b64 v[14:15], 2, v[4:5]
	v_mov_b32_e32 v5, s15
	v_add_co_u32_e32 v14, vcc, s14, v14
	v_addc_co_u32_e32 v15, vcc, v5, v15, vcc
	global_load_dword v5, v[14:15], off
	s_waitcnt vmcnt(0)
	ds_write_b32 v12, v5
	s_branch .LBB8_9
.LBB8_17:
	s_and_b64 s[0:1], s[26:27], s[0:1]
	s_and_b64 s[0:1], s[0:1], s[2:3]
	s_and_saveexec_b64 s[2:3], s[0:1]
	s_cbranch_execz .LBB8_21
; %bb.18:
	s_load_dwordx2 s[0:1], s[4:5], 0x58
	s_waitcnt lgkmcnt(0)
	v_mul_lo_u32 v4, s1, v2
	v_mul_lo_u32 v5, s0, v3
	v_mad_u64_u32 v[2:3], s[0:1], s0, v2, 0
	v_mad_u64_u32 v[0:1], s[0:1], s6, 3, v[0:1]
	v_add3_u32 v3, v3, v5, v4
	v_cmp_neq_f32_e64 s[0:1], s10, 0
	v_lshlrev_b64 v[2:3], 2, v[2:3]
	s_and_b64 vcc, exec, s[0:1]
	v_ashrrev_i32_e32 v1, 31, v0
	v_mul_f32_e32 v4, s20, v6
	s_cbranch_vccz .LBB8_22
; %bb.19:
	v_mov_b32_e32 v5, s23
	v_add_co_u32_e32 v7, vcc, s22, v2
	v_addc_co_u32_e32 v8, vcc, v5, v3, vcc
	v_lshlrev_b64 v[5:6], 2, v[0:1]
	v_add_co_u32_e32 v5, vcc, v7, v5
	v_addc_co_u32_e32 v6, vcc, v8, v6, vcc
	global_load_dword v7, v[5:6], off
	s_waitcnt vmcnt(0)
	v_fma_f32 v7, s10, v7, v4
	global_store_dword v[5:6], v7, off
	s_cbranch_execnz .LBB8_21
.LBB8_20:
	v_mov_b32_e32 v5, s23
	v_add_co_u32_e32 v2, vcc, s22, v2
	v_lshlrev_b64 v[0:1], 2, v[0:1]
	v_addc_co_u32_e32 v3, vcc, v5, v3, vcc
	v_add_co_u32_e32 v0, vcc, v2, v0
	v_addc_co_u32_e32 v1, vcc, v3, v1, vcc
	global_store_dword v[0:1], v4, off
.LBB8_21:
	s_endpgm
.LBB8_22:
	s_branch .LBB8_20
	.section	.rodata,"a",@progbits
	.p2align	6, 0x0
	.amdhsa_kernel _ZN9rocsparseL29gebsrmm_small_blockdim_kernelILi3ELi4ELi4ELi16EfEEv20rocsparse_direction_20rocsparse_operation_iiNS_24const_host_device_scalarIT3_EEPKiS7_PKS4_iiS9_lS5_PS4_l21rocsparse_index_base_b
		.amdhsa_group_segment_fixed_size 320
		.amdhsa_private_segment_fixed_size 0
		.amdhsa_kernarg_size 104
		.amdhsa_user_sgpr_count 6
		.amdhsa_user_sgpr_private_segment_buffer 1
		.amdhsa_user_sgpr_dispatch_ptr 0
		.amdhsa_user_sgpr_queue_ptr 0
		.amdhsa_user_sgpr_kernarg_segment_ptr 1
		.amdhsa_user_sgpr_dispatch_id 0
		.amdhsa_user_sgpr_flat_scratch_init 0
		.amdhsa_user_sgpr_private_segment_size 0
		.amdhsa_uses_dynamic_stack 0
		.amdhsa_system_sgpr_private_segment_wavefront_offset 0
		.amdhsa_system_sgpr_workgroup_id_x 1
		.amdhsa_system_sgpr_workgroup_id_y 1
		.amdhsa_system_sgpr_workgroup_id_z 0
		.amdhsa_system_sgpr_workgroup_info 0
		.amdhsa_system_vgpr_workitem_id 1
		.amdhsa_next_free_vgpr 22
		.amdhsa_next_free_sgpr 40
		.amdhsa_reserve_vcc 1
		.amdhsa_reserve_flat_scratch 0
		.amdhsa_float_round_mode_32 0
		.amdhsa_float_round_mode_16_64 0
		.amdhsa_float_denorm_mode_32 3
		.amdhsa_float_denorm_mode_16_64 3
		.amdhsa_dx10_clamp 1
		.amdhsa_ieee_mode 1
		.amdhsa_fp16_overflow 0
		.amdhsa_exception_fp_ieee_invalid_op 0
		.amdhsa_exception_fp_denorm_src 0
		.amdhsa_exception_fp_ieee_div_zero 0
		.amdhsa_exception_fp_ieee_overflow 0
		.amdhsa_exception_fp_ieee_underflow 0
		.amdhsa_exception_fp_ieee_inexact 0
		.amdhsa_exception_int_div_zero 0
	.end_amdhsa_kernel
	.section	.text._ZN9rocsparseL29gebsrmm_small_blockdim_kernelILi3ELi4ELi4ELi16EfEEv20rocsparse_direction_20rocsparse_operation_iiNS_24const_host_device_scalarIT3_EEPKiS7_PKS4_iiS9_lS5_PS4_l21rocsparse_index_base_b,"axG",@progbits,_ZN9rocsparseL29gebsrmm_small_blockdim_kernelILi3ELi4ELi4ELi16EfEEv20rocsparse_direction_20rocsparse_operation_iiNS_24const_host_device_scalarIT3_EEPKiS7_PKS4_iiS9_lS5_PS4_l21rocsparse_index_base_b,comdat
.Lfunc_end8:
	.size	_ZN9rocsparseL29gebsrmm_small_blockdim_kernelILi3ELi4ELi4ELi16EfEEv20rocsparse_direction_20rocsparse_operation_iiNS_24const_host_device_scalarIT3_EEPKiS7_PKS4_iiS9_lS5_PS4_l21rocsparse_index_base_b, .Lfunc_end8-_ZN9rocsparseL29gebsrmm_small_blockdim_kernelILi3ELi4ELi4ELi16EfEEv20rocsparse_direction_20rocsparse_operation_iiNS_24const_host_device_scalarIT3_EEPKiS7_PKS4_iiS9_lS5_PS4_l21rocsparse_index_base_b
                                        ; -- End function
	.set _ZN9rocsparseL29gebsrmm_small_blockdim_kernelILi3ELi4ELi4ELi16EfEEv20rocsparse_direction_20rocsparse_operation_iiNS_24const_host_device_scalarIT3_EEPKiS7_PKS4_iiS9_lS5_PS4_l21rocsparse_index_base_b.num_vgpr, 22
	.set _ZN9rocsparseL29gebsrmm_small_blockdim_kernelILi3ELi4ELi4ELi16EfEEv20rocsparse_direction_20rocsparse_operation_iiNS_24const_host_device_scalarIT3_EEPKiS7_PKS4_iiS9_lS5_PS4_l21rocsparse_index_base_b.num_agpr, 0
	.set _ZN9rocsparseL29gebsrmm_small_blockdim_kernelILi3ELi4ELi4ELi16EfEEv20rocsparse_direction_20rocsparse_operation_iiNS_24const_host_device_scalarIT3_EEPKiS7_PKS4_iiS9_lS5_PS4_l21rocsparse_index_base_b.numbered_sgpr, 40
	.set _ZN9rocsparseL29gebsrmm_small_blockdim_kernelILi3ELi4ELi4ELi16EfEEv20rocsparse_direction_20rocsparse_operation_iiNS_24const_host_device_scalarIT3_EEPKiS7_PKS4_iiS9_lS5_PS4_l21rocsparse_index_base_b.num_named_barrier, 0
	.set _ZN9rocsparseL29gebsrmm_small_blockdim_kernelILi3ELi4ELi4ELi16EfEEv20rocsparse_direction_20rocsparse_operation_iiNS_24const_host_device_scalarIT3_EEPKiS7_PKS4_iiS9_lS5_PS4_l21rocsparse_index_base_b.private_seg_size, 0
	.set _ZN9rocsparseL29gebsrmm_small_blockdim_kernelILi3ELi4ELi4ELi16EfEEv20rocsparse_direction_20rocsparse_operation_iiNS_24const_host_device_scalarIT3_EEPKiS7_PKS4_iiS9_lS5_PS4_l21rocsparse_index_base_b.uses_vcc, 1
	.set _ZN9rocsparseL29gebsrmm_small_blockdim_kernelILi3ELi4ELi4ELi16EfEEv20rocsparse_direction_20rocsparse_operation_iiNS_24const_host_device_scalarIT3_EEPKiS7_PKS4_iiS9_lS5_PS4_l21rocsparse_index_base_b.uses_flat_scratch, 0
	.set _ZN9rocsparseL29gebsrmm_small_blockdim_kernelILi3ELi4ELi4ELi16EfEEv20rocsparse_direction_20rocsparse_operation_iiNS_24const_host_device_scalarIT3_EEPKiS7_PKS4_iiS9_lS5_PS4_l21rocsparse_index_base_b.has_dyn_sized_stack, 0
	.set _ZN9rocsparseL29gebsrmm_small_blockdim_kernelILi3ELi4ELi4ELi16EfEEv20rocsparse_direction_20rocsparse_operation_iiNS_24const_host_device_scalarIT3_EEPKiS7_PKS4_iiS9_lS5_PS4_l21rocsparse_index_base_b.has_recursion, 0
	.set _ZN9rocsparseL29gebsrmm_small_blockdim_kernelILi3ELi4ELi4ELi16EfEEv20rocsparse_direction_20rocsparse_operation_iiNS_24const_host_device_scalarIT3_EEPKiS7_PKS4_iiS9_lS5_PS4_l21rocsparse_index_base_b.has_indirect_call, 0
	.section	.AMDGPU.csdata,"",@progbits
; Kernel info:
; codeLenInByte = 956
; TotalNumSgprs: 44
; NumVgprs: 22
; ScratchSize: 0
; MemoryBound: 0
; FloatMode: 240
; IeeeMode: 1
; LDSByteSize: 320 bytes/workgroup (compile time only)
; SGPRBlocks: 5
; VGPRBlocks: 5
; NumSGPRsForWavesPerEU: 44
; NumVGPRsForWavesPerEU: 22
; Occupancy: 10
; WaveLimiterHint : 1
; COMPUTE_PGM_RSRC2:SCRATCH_EN: 0
; COMPUTE_PGM_RSRC2:USER_SGPR: 6
; COMPUTE_PGM_RSRC2:TRAP_HANDLER: 0
; COMPUTE_PGM_RSRC2:TGID_X_EN: 1
; COMPUTE_PGM_RSRC2:TGID_Y_EN: 1
; COMPUTE_PGM_RSRC2:TGID_Z_EN: 0
; COMPUTE_PGM_RSRC2:TIDIG_COMP_CNT: 1
	.section	.text._ZN9rocsparseL29gebsrmm_small_blockdim_kernelILi4ELi1ELi4ELi16EfEEv20rocsparse_direction_20rocsparse_operation_iiNS_24const_host_device_scalarIT3_EEPKiS7_PKS4_iiS9_lS5_PS4_l21rocsparse_index_base_b,"axG",@progbits,_ZN9rocsparseL29gebsrmm_small_blockdim_kernelILi4ELi1ELi4ELi16EfEEv20rocsparse_direction_20rocsparse_operation_iiNS_24const_host_device_scalarIT3_EEPKiS7_PKS4_iiS9_lS5_PS4_l21rocsparse_index_base_b,comdat
	.globl	_ZN9rocsparseL29gebsrmm_small_blockdim_kernelILi4ELi1ELi4ELi16EfEEv20rocsparse_direction_20rocsparse_operation_iiNS_24const_host_device_scalarIT3_EEPKiS7_PKS4_iiS9_lS5_PS4_l21rocsparse_index_base_b ; -- Begin function _ZN9rocsparseL29gebsrmm_small_blockdim_kernelILi4ELi1ELi4ELi16EfEEv20rocsparse_direction_20rocsparse_operation_iiNS_24const_host_device_scalarIT3_EEPKiS7_PKS4_iiS9_lS5_PS4_l21rocsparse_index_base_b
	.p2align	8
	.type	_ZN9rocsparseL29gebsrmm_small_blockdim_kernelILi4ELi1ELi4ELi16EfEEv20rocsparse_direction_20rocsparse_operation_iiNS_24const_host_device_scalarIT3_EEPKiS7_PKS4_iiS9_lS5_PS4_l21rocsparse_index_base_b,@function
_ZN9rocsparseL29gebsrmm_small_blockdim_kernelILi4ELi1ELi4ELi16EfEEv20rocsparse_direction_20rocsparse_operation_iiNS_24const_host_device_scalarIT3_EEPKiS7_PKS4_iiS9_lS5_PS4_l21rocsparse_index_base_b: ; @_ZN9rocsparseL29gebsrmm_small_blockdim_kernelILi4ELi1ELi4ELi16EfEEv20rocsparse_direction_20rocsparse_operation_iiNS_24const_host_device_scalarIT3_EEPKiS7_PKS4_iiS9_lS5_PS4_l21rocsparse_index_base_b
; %bb.0:
	s_load_dwordx2 s[22:23], s[4:5], 0x60
	s_load_dwordx2 s[20:21], s[4:5], 0x10
	s_load_dwordx4 s[8:11], s[4:5], 0x40
	s_waitcnt lgkmcnt(0)
	s_bitcmp1_b32 s23, 0
	s_cselect_b64 s[2:3], -1, 0
	s_xor_b64 s[0:1], s[2:3], -1
	s_and_b64 vcc, exec, s[2:3]
	s_cbranch_vccnz .LBB9_2
; %bb.1:
	s_load_dword s20, s[20:21], 0x0
.LBB9_2:
	s_andn2_b64 vcc, exec, s[0:1]
	s_cbranch_vccnz .LBB9_4
; %bb.3:
	s_load_dword s10, s[10:11], 0x0
.LBB9_4:
	s_waitcnt lgkmcnt(0)
	v_cmp_eq_f32_e64 s[0:1], s20, 0
	v_cmp_eq_f32_e64 s[2:3], s10, 1.0
	s_and_b64 s[0:1], s[0:1], s[2:3]
	s_mov_b32 s11, 0
	s_and_b64 vcc, exec, s[0:1]
	s_cbranch_vccnz .LBB9_21
; %bb.5:
	s_load_dwordx4 s[16:19], s[4:5], 0x4
	s_mov_b32 s28, 0
	s_waitcnt lgkmcnt(0)
	s_cmp_lt_i32 s6, s17
	s_cselect_b64 s[26:27], -1, 0
	s_cmp_ge_i32 s6, s17
	s_cbranch_scc1 .LBB9_7
; %bb.6:
	s_load_dwordx2 s[2:3], s[4:5], 0x18
	s_mov_b32 s0, s7
	s_ashr_i32 s7, s6, 31
	s_lshl_b64 s[12:13], s[6:7], 2
	s_mov_b32 s7, s0
	s_waitcnt lgkmcnt(0)
	s_add_u32 s0, s2, s12
	s_addc_u32 s1, s3, s13
	s_load_dwordx2 s[2:3], s[0:1], 0x0
	s_waitcnt lgkmcnt(0)
	s_sub_i32 s28, s2, s22
	s_sub_i32 s11, s3, s22
.LBB9_7:
	s_load_dwordx2 s[24:25], s[4:5], 0x50
	v_lshl_add_u32 v2, s7, 4, v1
	v_ashrrev_i32_e32 v3, 31, v2
	v_cmp_gt_i32_e64 s[0:1], s18, v2
	v_cmp_gt_u32_e64 s[2:3], 4, v0
	s_cmp_ge_i32 s28, s11
	v_mov_b32_e32 v6, 0
	s_cbranch_scc1 .LBB9_17
; %bb.8:
	s_load_dwordx4 s[12:15], s[4:5], 0x20
	s_load_dwordx2 s[34:35], s[4:5], 0x38
	v_mul_lo_u32 v9, s9, v2
	v_mul_lo_u32 v12, s8, v3
	v_mad_u64_u32 v[10:11], s[36:37], s8, v2, 0
	v_cmp_eq_u32_e32 vcc, 0, v0
	v_lshlrev_b64 v[4:5], 2, v[2:3]
	s_and_b64 s[18:19], vcc, s[0:1]
	v_cmp_eq_u32_e32 vcc, 0, v1
	s_and_b64 s[30:31], s[2:3], vcc
	s_waitcnt lgkmcnt(0)
	v_mov_b32_e32 v6, s35
	v_add_co_u32_e32 v7, vcc, s34, v4
	v_add3_u32 v11, v11, v12, v9
	v_lshlrev_b32_e32 v4, 2, v1
	v_addc_co_u32_e32 v8, vcc, v6, v5, vcc
	v_add_lshl_u32 v9, v4, v0, 2
	s_cmpk_lg_i32 s16, 0x6f
	v_lshlrev_b64 v[4:5], 2, v[10:11]
	s_cselect_b64 s[16:17], -1, 0
	s_ashr_i32 s29, s28, 31
	v_add_co_u32_e32 v10, vcc, s34, v4
	s_lshl_b64 s[34:35], s[28:29], 2
	v_mov_b32_e32 v4, 0x100
	s_add_u32 s12, s12, s34
	v_addc_co_u32_e32 v11, vcc, v6, v5, vcc
	v_add_u32_e32 v12, 0x100, v9
	v_lshl_or_b32 v13, v0, 2, v4
	v_lshlrev_b32_e32 v1, 4, v1
	s_addc_u32 s13, s13, s35
	v_lshl_add_u32 v4, s28, 2, v0
	v_mov_b32_e32 v6, 0
	s_branch .LBB9_10
.LBB9_9:                                ;   in Loop: Header=BB9_10 Depth=1
	s_or_b64 exec, exec, s[34:35]
	s_waitcnt lgkmcnt(0)
	; wave barrier
	ds_read_b32 v5, v13
	ds_read_b32 v14, v1
	s_add_i32 s28, s28, 1
	s_add_u32 s12, s12, 4
	s_addc_u32 s13, s13, 0
	s_cmp_ge_i32 s28, s11
	s_waitcnt lgkmcnt(0)
	v_fmac_f32_e32 v6, v5, v14
	v_add_u32_e32 v4, 4, v4
	; wave barrier
	s_cbranch_scc1 .LBB9_17
.LBB9_10:                               ; =>This Inner Loop Header: Depth=1
	v_mov_b32_e32 v5, 0
	s_and_saveexec_b64 s[34:35], s[18:19]
	s_cbranch_execz .LBB9_15
; %bb.11:                               ;   in Loop: Header=BB9_10 Depth=1
	s_load_dword s7, s[12:13], 0x0
	s_mov_b64 s[38:39], -1
	s_and_b64 vcc, exec, s[16:17]
                                        ; implicit-def: $vgpr5
	s_waitcnt lgkmcnt(0)
	s_sub_i32 s36, s7, s22
	s_ashr_i32 s37, s36, 31
	s_cbranch_vccz .LBB9_13
; %bb.12:                               ;   in Loop: Header=BB9_10 Depth=1
	s_mul_i32 s7, s8, s37
	s_mul_hi_u32 s21, s8, s36
	s_add_i32 s7, s21, s7
	s_mul_i32 s21, s9, s36
	s_add_i32 s39, s7, s21
	s_mul_i32 s38, s8, s36
	s_lshl_b64 s[38:39], s[38:39], 2
	v_mov_b32_e32 v5, s39
	v_add_co_u32_e32 v14, vcc, s38, v7
	v_addc_co_u32_e32 v15, vcc, v8, v5, vcc
	global_load_dword v5, v[14:15], off
	s_mov_b64 s[38:39], 0
.LBB9_13:                               ;   in Loop: Header=BB9_10 Depth=1
	s_andn2_b64 vcc, exec, s[38:39]
	s_cbranch_vccnz .LBB9_15
; %bb.14:                               ;   in Loop: Header=BB9_10 Depth=1
	s_lshl_b64 s[36:37], s[36:37], 2
	s_waitcnt vmcnt(0)
	v_mov_b32_e32 v5, s37
	v_add_co_u32_e32 v14, vcc, s36, v10
	v_addc_co_u32_e32 v15, vcc, v11, v5, vcc
	global_load_dword v5, v[14:15], off
.LBB9_15:                               ;   in Loop: Header=BB9_10 Depth=1
	s_or_b64 exec, exec, s[34:35]
	s_waitcnt vmcnt(0)
	ds_write_b32 v9, v5
	s_and_saveexec_b64 s[34:35], s[30:31]
	s_cbranch_execz .LBB9_9
; %bb.16:                               ;   in Loop: Header=BB9_10 Depth=1
	v_ashrrev_i32_e32 v5, 31, v4
	v_lshlrev_b64 v[14:15], 2, v[4:5]
	v_mov_b32_e32 v5, s15
	v_add_co_u32_e32 v14, vcc, s14, v14
	v_addc_co_u32_e32 v15, vcc, v5, v15, vcc
	global_load_dword v5, v[14:15], off
	s_waitcnt vmcnt(0)
	ds_write_b32 v12, v5
	s_branch .LBB9_9
.LBB9_17:
	s_and_b64 s[0:1], s[26:27], s[0:1]
	s_and_b64 s[0:1], s[0:1], s[2:3]
	s_and_saveexec_b64 s[2:3], s[0:1]
	s_cbranch_execz .LBB9_21
; %bb.18:
	s_load_dwordx2 s[0:1], s[4:5], 0x58
	v_lshl_add_u32 v0, s6, 2, v0
	v_ashrrev_i32_e32 v1, 31, v0
	s_waitcnt lgkmcnt(0)
	v_mul_lo_u32 v4, s1, v2
	v_mul_lo_u32 v5, s0, v3
	v_mad_u64_u32 v[2:3], s[0:1], s0, v2, 0
	v_cmp_neq_f32_e64 s[0:1], s10, 0
	s_and_b64 vcc, exec, s[0:1]
	v_add3_u32 v3, v3, v5, v4
	v_lshlrev_b64 v[2:3], 2, v[2:3]
	v_mul_f32_e32 v4, s20, v6
	s_cbranch_vccz .LBB9_22
; %bb.19:
	v_mov_b32_e32 v5, s25
	v_add_co_u32_e32 v7, vcc, s24, v2
	v_addc_co_u32_e32 v8, vcc, v5, v3, vcc
	v_lshlrev_b64 v[5:6], 2, v[0:1]
	v_add_co_u32_e32 v5, vcc, v7, v5
	v_addc_co_u32_e32 v6, vcc, v8, v6, vcc
	global_load_dword v7, v[5:6], off
	s_waitcnt vmcnt(0)
	v_fma_f32 v7, s10, v7, v4
	global_store_dword v[5:6], v7, off
	s_cbranch_execnz .LBB9_21
.LBB9_20:
	v_mov_b32_e32 v5, s25
	v_add_co_u32_e32 v2, vcc, s24, v2
	v_lshlrev_b64 v[0:1], 2, v[0:1]
	v_addc_co_u32_e32 v3, vcc, v5, v3, vcc
	v_add_co_u32_e32 v0, vcc, v2, v0
	v_addc_co_u32_e32 v1, vcc, v3, v1, vcc
	global_store_dword v[0:1], v4, off
.LBB9_21:
	s_endpgm
.LBB9_22:
	s_branch .LBB9_20
	.section	.rodata,"a",@progbits
	.p2align	6, 0x0
	.amdhsa_kernel _ZN9rocsparseL29gebsrmm_small_blockdim_kernelILi4ELi1ELi4ELi16EfEEv20rocsparse_direction_20rocsparse_operation_iiNS_24const_host_device_scalarIT3_EEPKiS7_PKS4_iiS9_lS5_PS4_l21rocsparse_index_base_b
		.amdhsa_group_segment_fixed_size 320
		.amdhsa_private_segment_fixed_size 0
		.amdhsa_kernarg_size 104
		.amdhsa_user_sgpr_count 6
		.amdhsa_user_sgpr_private_segment_buffer 1
		.amdhsa_user_sgpr_dispatch_ptr 0
		.amdhsa_user_sgpr_queue_ptr 0
		.amdhsa_user_sgpr_kernarg_segment_ptr 1
		.amdhsa_user_sgpr_dispatch_id 0
		.amdhsa_user_sgpr_flat_scratch_init 0
		.amdhsa_user_sgpr_private_segment_size 0
		.amdhsa_uses_dynamic_stack 0
		.amdhsa_system_sgpr_private_segment_wavefront_offset 0
		.amdhsa_system_sgpr_workgroup_id_x 1
		.amdhsa_system_sgpr_workgroup_id_y 1
		.amdhsa_system_sgpr_workgroup_id_z 0
		.amdhsa_system_sgpr_workgroup_info 0
		.amdhsa_system_vgpr_workitem_id 1
		.amdhsa_next_free_vgpr 16
		.amdhsa_next_free_sgpr 40
		.amdhsa_reserve_vcc 1
		.amdhsa_reserve_flat_scratch 0
		.amdhsa_float_round_mode_32 0
		.amdhsa_float_round_mode_16_64 0
		.amdhsa_float_denorm_mode_32 3
		.amdhsa_float_denorm_mode_16_64 3
		.amdhsa_dx10_clamp 1
		.amdhsa_ieee_mode 1
		.amdhsa_fp16_overflow 0
		.amdhsa_exception_fp_ieee_invalid_op 0
		.amdhsa_exception_fp_denorm_src 0
		.amdhsa_exception_fp_ieee_div_zero 0
		.amdhsa_exception_fp_ieee_overflow 0
		.amdhsa_exception_fp_ieee_underflow 0
		.amdhsa_exception_fp_ieee_inexact 0
		.amdhsa_exception_int_div_zero 0
	.end_amdhsa_kernel
	.section	.text._ZN9rocsparseL29gebsrmm_small_blockdim_kernelILi4ELi1ELi4ELi16EfEEv20rocsparse_direction_20rocsparse_operation_iiNS_24const_host_device_scalarIT3_EEPKiS7_PKS4_iiS9_lS5_PS4_l21rocsparse_index_base_b,"axG",@progbits,_ZN9rocsparseL29gebsrmm_small_blockdim_kernelILi4ELi1ELi4ELi16EfEEv20rocsparse_direction_20rocsparse_operation_iiNS_24const_host_device_scalarIT3_EEPKiS7_PKS4_iiS9_lS5_PS4_l21rocsparse_index_base_b,comdat
.Lfunc_end9:
	.size	_ZN9rocsparseL29gebsrmm_small_blockdim_kernelILi4ELi1ELi4ELi16EfEEv20rocsparse_direction_20rocsparse_operation_iiNS_24const_host_device_scalarIT3_EEPKiS7_PKS4_iiS9_lS5_PS4_l21rocsparse_index_base_b, .Lfunc_end9-_ZN9rocsparseL29gebsrmm_small_blockdim_kernelILi4ELi1ELi4ELi16EfEEv20rocsparse_direction_20rocsparse_operation_iiNS_24const_host_device_scalarIT3_EEPKiS7_PKS4_iiS9_lS5_PS4_l21rocsparse_index_base_b
                                        ; -- End function
	.set _ZN9rocsparseL29gebsrmm_small_blockdim_kernelILi4ELi1ELi4ELi16EfEEv20rocsparse_direction_20rocsparse_operation_iiNS_24const_host_device_scalarIT3_EEPKiS7_PKS4_iiS9_lS5_PS4_l21rocsparse_index_base_b.num_vgpr, 16
	.set _ZN9rocsparseL29gebsrmm_small_blockdim_kernelILi4ELi1ELi4ELi16EfEEv20rocsparse_direction_20rocsparse_operation_iiNS_24const_host_device_scalarIT3_EEPKiS7_PKS4_iiS9_lS5_PS4_l21rocsparse_index_base_b.num_agpr, 0
	.set _ZN9rocsparseL29gebsrmm_small_blockdim_kernelILi4ELi1ELi4ELi16EfEEv20rocsparse_direction_20rocsparse_operation_iiNS_24const_host_device_scalarIT3_EEPKiS7_PKS4_iiS9_lS5_PS4_l21rocsparse_index_base_b.numbered_sgpr, 40
	.set _ZN9rocsparseL29gebsrmm_small_blockdim_kernelILi4ELi1ELi4ELi16EfEEv20rocsparse_direction_20rocsparse_operation_iiNS_24const_host_device_scalarIT3_EEPKiS7_PKS4_iiS9_lS5_PS4_l21rocsparse_index_base_b.num_named_barrier, 0
	.set _ZN9rocsparseL29gebsrmm_small_blockdim_kernelILi4ELi1ELi4ELi16EfEEv20rocsparse_direction_20rocsparse_operation_iiNS_24const_host_device_scalarIT3_EEPKiS7_PKS4_iiS9_lS5_PS4_l21rocsparse_index_base_b.private_seg_size, 0
	.set _ZN9rocsparseL29gebsrmm_small_blockdim_kernelILi4ELi1ELi4ELi16EfEEv20rocsparse_direction_20rocsparse_operation_iiNS_24const_host_device_scalarIT3_EEPKiS7_PKS4_iiS9_lS5_PS4_l21rocsparse_index_base_b.uses_vcc, 1
	.set _ZN9rocsparseL29gebsrmm_small_blockdim_kernelILi4ELi1ELi4ELi16EfEEv20rocsparse_direction_20rocsparse_operation_iiNS_24const_host_device_scalarIT3_EEPKiS7_PKS4_iiS9_lS5_PS4_l21rocsparse_index_base_b.uses_flat_scratch, 0
	.set _ZN9rocsparseL29gebsrmm_small_blockdim_kernelILi4ELi1ELi4ELi16EfEEv20rocsparse_direction_20rocsparse_operation_iiNS_24const_host_device_scalarIT3_EEPKiS7_PKS4_iiS9_lS5_PS4_l21rocsparse_index_base_b.has_dyn_sized_stack, 0
	.set _ZN9rocsparseL29gebsrmm_small_blockdim_kernelILi4ELi1ELi4ELi16EfEEv20rocsparse_direction_20rocsparse_operation_iiNS_24const_host_device_scalarIT3_EEPKiS7_PKS4_iiS9_lS5_PS4_l21rocsparse_index_base_b.has_recursion, 0
	.set _ZN9rocsparseL29gebsrmm_small_blockdim_kernelILi4ELi1ELi4ELi16EfEEv20rocsparse_direction_20rocsparse_operation_iiNS_24const_host_device_scalarIT3_EEPKiS7_PKS4_iiS9_lS5_PS4_l21rocsparse_index_base_b.has_indirect_call, 0
	.section	.AMDGPU.csdata,"",@progbits
; Kernel info:
; codeLenInByte = 892
; TotalNumSgprs: 44
; NumVgprs: 16
; ScratchSize: 0
; MemoryBound: 0
; FloatMode: 240
; IeeeMode: 1
; LDSByteSize: 320 bytes/workgroup (compile time only)
; SGPRBlocks: 5
; VGPRBlocks: 3
; NumSGPRsForWavesPerEU: 44
; NumVGPRsForWavesPerEU: 16
; Occupancy: 10
; WaveLimiterHint : 1
; COMPUTE_PGM_RSRC2:SCRATCH_EN: 0
; COMPUTE_PGM_RSRC2:USER_SGPR: 6
; COMPUTE_PGM_RSRC2:TRAP_HANDLER: 0
; COMPUTE_PGM_RSRC2:TGID_X_EN: 1
; COMPUTE_PGM_RSRC2:TGID_Y_EN: 1
; COMPUTE_PGM_RSRC2:TGID_Z_EN: 0
; COMPUTE_PGM_RSRC2:TIDIG_COMP_CNT: 1
	.section	.text._ZN9rocsparseL29gebsrmm_small_blockdim_kernelILi4ELi2ELi4ELi16EfEEv20rocsparse_direction_20rocsparse_operation_iiNS_24const_host_device_scalarIT3_EEPKiS7_PKS4_iiS9_lS5_PS4_l21rocsparse_index_base_b,"axG",@progbits,_ZN9rocsparseL29gebsrmm_small_blockdim_kernelILi4ELi2ELi4ELi16EfEEv20rocsparse_direction_20rocsparse_operation_iiNS_24const_host_device_scalarIT3_EEPKiS7_PKS4_iiS9_lS5_PS4_l21rocsparse_index_base_b,comdat
	.globl	_ZN9rocsparseL29gebsrmm_small_blockdim_kernelILi4ELi2ELi4ELi16EfEEv20rocsparse_direction_20rocsparse_operation_iiNS_24const_host_device_scalarIT3_EEPKiS7_PKS4_iiS9_lS5_PS4_l21rocsparse_index_base_b ; -- Begin function _ZN9rocsparseL29gebsrmm_small_blockdim_kernelILi4ELi2ELi4ELi16EfEEv20rocsparse_direction_20rocsparse_operation_iiNS_24const_host_device_scalarIT3_EEPKiS7_PKS4_iiS9_lS5_PS4_l21rocsparse_index_base_b
	.p2align	8
	.type	_ZN9rocsparseL29gebsrmm_small_blockdim_kernelILi4ELi2ELi4ELi16EfEEv20rocsparse_direction_20rocsparse_operation_iiNS_24const_host_device_scalarIT3_EEPKiS7_PKS4_iiS9_lS5_PS4_l21rocsparse_index_base_b,@function
_ZN9rocsparseL29gebsrmm_small_blockdim_kernelILi4ELi2ELi4ELi16EfEEv20rocsparse_direction_20rocsparse_operation_iiNS_24const_host_device_scalarIT3_EEPKiS7_PKS4_iiS9_lS5_PS4_l21rocsparse_index_base_b: ; @_ZN9rocsparseL29gebsrmm_small_blockdim_kernelILi4ELi2ELi4ELi16EfEEv20rocsparse_direction_20rocsparse_operation_iiNS_24const_host_device_scalarIT3_EEPKiS7_PKS4_iiS9_lS5_PS4_l21rocsparse_index_base_b
; %bb.0:
	s_load_dwordx2 s[22:23], s[4:5], 0x60
	s_load_dwordx2 s[20:21], s[4:5], 0x10
	s_load_dwordx4 s[8:11], s[4:5], 0x40
	s_waitcnt lgkmcnt(0)
	s_bitcmp1_b32 s23, 0
	s_cselect_b64 s[2:3], -1, 0
	s_xor_b64 s[0:1], s[2:3], -1
	s_and_b64 vcc, exec, s[2:3]
	s_cbranch_vccnz .LBB10_2
; %bb.1:
	s_load_dword s20, s[20:21], 0x0
.LBB10_2:
	s_andn2_b64 vcc, exec, s[0:1]
	s_cbranch_vccnz .LBB10_4
; %bb.3:
	s_load_dword s10, s[10:11], 0x0
.LBB10_4:
	s_waitcnt lgkmcnt(0)
	v_cmp_eq_f32_e64 s[0:1], s20, 0
	v_cmp_eq_f32_e64 s[2:3], s10, 1.0
	s_and_b64 s[0:1], s[0:1], s[2:3]
	s_mov_b32 s11, 0
	s_and_b64 vcc, exec, s[0:1]
	s_cbranch_vccnz .LBB10_21
; %bb.5:
	s_load_dwordx4 s[16:19], s[4:5], 0x0
	s_waitcnt lgkmcnt(0)
	s_cmp_lt_i32 s6, s18
	s_cselect_b64 s[26:27], -1, 0
	s_cmp_ge_i32 s6, s18
	s_mov_b32 s18, 0
	s_cbranch_scc1 .LBB10_7
; %bb.6:
	s_load_dwordx2 s[2:3], s[4:5], 0x18
	s_mov_b32 s0, s7
	s_ashr_i32 s7, s6, 31
	s_lshl_b64 s[12:13], s[6:7], 2
	s_mov_b32 s7, s0
	s_waitcnt lgkmcnt(0)
	s_add_u32 s0, s2, s12
	s_addc_u32 s1, s3, s13
	s_load_dwordx2 s[2:3], s[0:1], 0x0
	s_waitcnt lgkmcnt(0)
	s_sub_i32 s18, s2, s22
	s_sub_i32 s11, s3, s22
.LBB10_7:
	s_load_dwordx2 s[24:25], s[4:5], 0x50
	v_lshl_add_u32 v2, s7, 4, v1
	v_ashrrev_i32_e32 v3, 31, v2
	v_cmp_gt_i32_e64 s[0:1], s19, v2
	v_cmp_gt_u32_e64 s[2:3], 4, v0
	s_cmp_ge_i32 s18, s11
	v_mov_b32_e32 v6, 0
	s_cbranch_scc1 .LBB10_17
; %bb.8:
	s_load_dwordx4 s[12:15], s[4:5], 0x20
	s_load_dwordx2 s[36:37], s[4:5], 0x38
	v_mul_lo_u32 v9, s9, v2
	v_mul_lo_u32 v12, s8, v3
	v_mad_u64_u32 v[10:11], s[34:35], s8, v2, 0
	v_cmp_gt_u32_e32 vcc, 2, v0
	v_lshlrev_b64 v[4:5], 2, v[2:3]
	s_and_b64 s[28:29], s[0:1], vcc
	v_cmp_gt_u32_e32 vcc, 2, v1
	s_and_b64 s[30:31], s[2:3], vcc
	s_waitcnt lgkmcnt(0)
	v_mov_b32_e32 v6, s37
	v_add_co_u32_e32 v7, vcc, s36, v4
	v_add3_u32 v11, v11, v12, v9
	v_addc_co_u32_e32 v8, vcc, v6, v5, vcc
	v_lshlrev_b64 v[4:5], 2, v[10:11]
	v_lshlrev_b32_e32 v13, 2, v0
	v_add_co_u32_e32 v4, vcc, s36, v4
	v_addc_co_u32_e32 v5, vcc, v6, v5, vcc
	s_cmpk_lg_i32 s17, 0x6f
	v_add_co_u32_e32 v10, vcc, v4, v13
	s_cselect_b64 s[34:35], -1, 0
	v_addc_co_u32_e32 v11, vcc, 0, v5, vcc
	s_cmp_eq_u32 s16, 0
	s_cselect_b64 vcc, -1, 0
	s_ashr_i32 s19, s18, 31
	v_lshl_add_u32 v14, v1, 2, v0
	v_lshl_add_u32 v4, v0, 1, v1
	s_lshl_b64 s[16:17], s[18:19], 2
	v_lshlrev_b32_e32 v9, 2, v14
	v_cndmask_b32_e32 v4, v14, v4, vcc
	s_add_u32 s12, s12, s16
	v_mov_b32_e32 v6, 0
	v_add_u32_e32 v12, 0x100, v9
	v_add_u32_e32 v13, 0x100, v13
	v_lshlrev_b32_e32 v1, 4, v1
	s_addc_u32 s13, s13, s17
	v_lshl_add_u32 v4, s18, 3, v4
	s_branch .LBB10_10
.LBB10_9:                               ;   in Loop: Header=BB10_10 Depth=1
	s_or_b64 exec, exec, s[16:17]
	s_waitcnt lgkmcnt(0)
	; wave barrier
	ds_read_b64 v[14:15], v1
	ds_read2_b32 v[16:17], v13 offset1:4
	s_add_i32 s18, s18, 1
	s_add_u32 s12, s12, 4
	s_addc_u32 s13, s13, 0
	s_cmp_ge_i32 s18, s11
	s_waitcnt lgkmcnt(0)
	v_fmac_f32_e32 v6, v16, v14
	v_fmac_f32_e32 v6, v17, v15
	v_add_u32_e32 v4, 8, v4
	; wave barrier
	s_cbranch_scc1 .LBB10_17
.LBB10_10:                              ; =>This Inner Loop Header: Depth=1
	v_mov_b32_e32 v5, 0
	s_and_saveexec_b64 s[16:17], s[28:29]
	s_cbranch_execz .LBB10_15
; %bb.11:                               ;   in Loop: Header=BB10_10 Depth=1
	s_load_dword s7, s[12:13], 0x0
	s_mov_b64 s[38:39], -1
	s_and_b64 vcc, exec, s[34:35]
                                        ; implicit-def: $vgpr5
	s_waitcnt lgkmcnt(0)
	s_sub_i32 s7, s7, s22
	s_lshl_b32 s36, s7, 1
	s_cbranch_vccz .LBB10_13
; %bb.12:                               ;   in Loop: Header=BB10_10 Depth=1
	v_or_b32_e32 v5, s36, v0
	v_mul_lo_u32 v16, s9, v5
	v_mad_u64_u32 v[14:15], s[38:39], s8, v5, 0
	s_ashr_i32 s7, s36, 31
	s_mul_i32 s7, s8, s7
	v_add3_u32 v15, v15, s7, v16
	v_lshlrev_b64 v[14:15], 2, v[14:15]
	s_mov_b64 s[38:39], 0
	v_add_co_u32_e32 v14, vcc, v7, v14
	v_addc_co_u32_e32 v15, vcc, v8, v15, vcc
	global_load_dword v5, v[14:15], off
.LBB10_13:                              ;   in Loop: Header=BB10_10 Depth=1
	s_andn2_b64 vcc, exec, s[38:39]
	s_cbranch_vccnz .LBB10_15
; %bb.14:                               ;   in Loop: Header=BB10_10 Depth=1
	s_ashr_i32 s37, s36, 31
	s_lshl_b64 s[36:37], s[36:37], 2
	s_waitcnt vmcnt(0)
	v_mov_b32_e32 v5, s37
	v_add_co_u32_e32 v14, vcc, s36, v10
	v_addc_co_u32_e32 v15, vcc, v11, v5, vcc
	global_load_dword v5, v[14:15], off
.LBB10_15:                              ;   in Loop: Header=BB10_10 Depth=1
	s_or_b64 exec, exec, s[16:17]
	s_waitcnt vmcnt(0)
	ds_write_b32 v9, v5
	s_and_saveexec_b64 s[16:17], s[30:31]
	s_cbranch_execz .LBB10_9
; %bb.16:                               ;   in Loop: Header=BB10_10 Depth=1
	v_ashrrev_i32_e32 v5, 31, v4
	v_lshlrev_b64 v[14:15], 2, v[4:5]
	v_mov_b32_e32 v5, s15
	v_add_co_u32_e32 v14, vcc, s14, v14
	v_addc_co_u32_e32 v15, vcc, v5, v15, vcc
	global_load_dword v5, v[14:15], off
	s_waitcnt vmcnt(0)
	ds_write_b32 v12, v5
	s_branch .LBB10_9
.LBB10_17:
	s_and_b64 s[0:1], s[26:27], s[0:1]
	s_and_b64 s[0:1], s[0:1], s[2:3]
	s_and_saveexec_b64 s[2:3], s[0:1]
	s_cbranch_execz .LBB10_21
; %bb.18:
	s_load_dwordx2 s[0:1], s[4:5], 0x58
	v_lshl_add_u32 v0, s6, 2, v0
	v_ashrrev_i32_e32 v1, 31, v0
	s_waitcnt lgkmcnt(0)
	v_mul_lo_u32 v4, s1, v2
	v_mul_lo_u32 v5, s0, v3
	v_mad_u64_u32 v[2:3], s[0:1], s0, v2, 0
	v_cmp_neq_f32_e64 s[0:1], s10, 0
	s_and_b64 vcc, exec, s[0:1]
	v_add3_u32 v3, v3, v5, v4
	v_lshlrev_b64 v[2:3], 2, v[2:3]
	v_mul_f32_e32 v4, s20, v6
	s_cbranch_vccz .LBB10_22
; %bb.19:
	v_mov_b32_e32 v5, s25
	v_add_co_u32_e32 v7, vcc, s24, v2
	v_addc_co_u32_e32 v8, vcc, v5, v3, vcc
	v_lshlrev_b64 v[5:6], 2, v[0:1]
	v_add_co_u32_e32 v5, vcc, v7, v5
	v_addc_co_u32_e32 v6, vcc, v8, v6, vcc
	global_load_dword v7, v[5:6], off
	s_waitcnt vmcnt(0)
	v_fma_f32 v7, s10, v7, v4
	global_store_dword v[5:6], v7, off
	s_cbranch_execnz .LBB10_21
.LBB10_20:
	v_mov_b32_e32 v5, s25
	v_add_co_u32_e32 v2, vcc, s24, v2
	v_lshlrev_b64 v[0:1], 2, v[0:1]
	v_addc_co_u32_e32 v3, vcc, v5, v3, vcc
	v_add_co_u32_e32 v0, vcc, v2, v0
	v_addc_co_u32_e32 v1, vcc, v3, v1, vcc
	global_store_dword v[0:1], v4, off
.LBB10_21:
	s_endpgm
.LBB10_22:
	s_branch .LBB10_20
	.section	.rodata,"a",@progbits
	.p2align	6, 0x0
	.amdhsa_kernel _ZN9rocsparseL29gebsrmm_small_blockdim_kernelILi4ELi2ELi4ELi16EfEEv20rocsparse_direction_20rocsparse_operation_iiNS_24const_host_device_scalarIT3_EEPKiS7_PKS4_iiS9_lS5_PS4_l21rocsparse_index_base_b
		.amdhsa_group_segment_fixed_size 320
		.amdhsa_private_segment_fixed_size 0
		.amdhsa_kernarg_size 104
		.amdhsa_user_sgpr_count 6
		.amdhsa_user_sgpr_private_segment_buffer 1
		.amdhsa_user_sgpr_dispatch_ptr 0
		.amdhsa_user_sgpr_queue_ptr 0
		.amdhsa_user_sgpr_kernarg_segment_ptr 1
		.amdhsa_user_sgpr_dispatch_id 0
		.amdhsa_user_sgpr_flat_scratch_init 0
		.amdhsa_user_sgpr_private_segment_size 0
		.amdhsa_uses_dynamic_stack 0
		.amdhsa_system_sgpr_private_segment_wavefront_offset 0
		.amdhsa_system_sgpr_workgroup_id_x 1
		.amdhsa_system_sgpr_workgroup_id_y 1
		.amdhsa_system_sgpr_workgroup_id_z 0
		.amdhsa_system_sgpr_workgroup_info 0
		.amdhsa_system_vgpr_workitem_id 1
		.amdhsa_next_free_vgpr 18
		.amdhsa_next_free_sgpr 40
		.amdhsa_reserve_vcc 1
		.amdhsa_reserve_flat_scratch 0
		.amdhsa_float_round_mode_32 0
		.amdhsa_float_round_mode_16_64 0
		.amdhsa_float_denorm_mode_32 3
		.amdhsa_float_denorm_mode_16_64 3
		.amdhsa_dx10_clamp 1
		.amdhsa_ieee_mode 1
		.amdhsa_fp16_overflow 0
		.amdhsa_exception_fp_ieee_invalid_op 0
		.amdhsa_exception_fp_denorm_src 0
		.amdhsa_exception_fp_ieee_div_zero 0
		.amdhsa_exception_fp_ieee_overflow 0
		.amdhsa_exception_fp_ieee_underflow 0
		.amdhsa_exception_fp_ieee_inexact 0
		.amdhsa_exception_int_div_zero 0
	.end_amdhsa_kernel
	.section	.text._ZN9rocsparseL29gebsrmm_small_blockdim_kernelILi4ELi2ELi4ELi16EfEEv20rocsparse_direction_20rocsparse_operation_iiNS_24const_host_device_scalarIT3_EEPKiS7_PKS4_iiS9_lS5_PS4_l21rocsparse_index_base_b,"axG",@progbits,_ZN9rocsparseL29gebsrmm_small_blockdim_kernelILi4ELi2ELi4ELi16EfEEv20rocsparse_direction_20rocsparse_operation_iiNS_24const_host_device_scalarIT3_EEPKiS7_PKS4_iiS9_lS5_PS4_l21rocsparse_index_base_b,comdat
.Lfunc_end10:
	.size	_ZN9rocsparseL29gebsrmm_small_blockdim_kernelILi4ELi2ELi4ELi16EfEEv20rocsparse_direction_20rocsparse_operation_iiNS_24const_host_device_scalarIT3_EEPKiS7_PKS4_iiS9_lS5_PS4_l21rocsparse_index_base_b, .Lfunc_end10-_ZN9rocsparseL29gebsrmm_small_blockdim_kernelILi4ELi2ELi4ELi16EfEEv20rocsparse_direction_20rocsparse_operation_iiNS_24const_host_device_scalarIT3_EEPKiS7_PKS4_iiS9_lS5_PS4_l21rocsparse_index_base_b
                                        ; -- End function
	.set _ZN9rocsparseL29gebsrmm_small_blockdim_kernelILi4ELi2ELi4ELi16EfEEv20rocsparse_direction_20rocsparse_operation_iiNS_24const_host_device_scalarIT3_EEPKiS7_PKS4_iiS9_lS5_PS4_l21rocsparse_index_base_b.num_vgpr, 18
	.set _ZN9rocsparseL29gebsrmm_small_blockdim_kernelILi4ELi2ELi4ELi16EfEEv20rocsparse_direction_20rocsparse_operation_iiNS_24const_host_device_scalarIT3_EEPKiS7_PKS4_iiS9_lS5_PS4_l21rocsparse_index_base_b.num_agpr, 0
	.set _ZN9rocsparseL29gebsrmm_small_blockdim_kernelILi4ELi2ELi4ELi16EfEEv20rocsparse_direction_20rocsparse_operation_iiNS_24const_host_device_scalarIT3_EEPKiS7_PKS4_iiS9_lS5_PS4_l21rocsparse_index_base_b.numbered_sgpr, 40
	.set _ZN9rocsparseL29gebsrmm_small_blockdim_kernelILi4ELi2ELi4ELi16EfEEv20rocsparse_direction_20rocsparse_operation_iiNS_24const_host_device_scalarIT3_EEPKiS7_PKS4_iiS9_lS5_PS4_l21rocsparse_index_base_b.num_named_barrier, 0
	.set _ZN9rocsparseL29gebsrmm_small_blockdim_kernelILi4ELi2ELi4ELi16EfEEv20rocsparse_direction_20rocsparse_operation_iiNS_24const_host_device_scalarIT3_EEPKiS7_PKS4_iiS9_lS5_PS4_l21rocsparse_index_base_b.private_seg_size, 0
	.set _ZN9rocsparseL29gebsrmm_small_blockdim_kernelILi4ELi2ELi4ELi16EfEEv20rocsparse_direction_20rocsparse_operation_iiNS_24const_host_device_scalarIT3_EEPKiS7_PKS4_iiS9_lS5_PS4_l21rocsparse_index_base_b.uses_vcc, 1
	.set _ZN9rocsparseL29gebsrmm_small_blockdim_kernelILi4ELi2ELi4ELi16EfEEv20rocsparse_direction_20rocsparse_operation_iiNS_24const_host_device_scalarIT3_EEPKiS7_PKS4_iiS9_lS5_PS4_l21rocsparse_index_base_b.uses_flat_scratch, 0
	.set _ZN9rocsparseL29gebsrmm_small_blockdim_kernelILi4ELi2ELi4ELi16EfEEv20rocsparse_direction_20rocsparse_operation_iiNS_24const_host_device_scalarIT3_EEPKiS7_PKS4_iiS9_lS5_PS4_l21rocsparse_index_base_b.has_dyn_sized_stack, 0
	.set _ZN9rocsparseL29gebsrmm_small_blockdim_kernelILi4ELi2ELi4ELi16EfEEv20rocsparse_direction_20rocsparse_operation_iiNS_24const_host_device_scalarIT3_EEPKiS7_PKS4_iiS9_lS5_PS4_l21rocsparse_index_base_b.has_recursion, 0
	.set _ZN9rocsparseL29gebsrmm_small_blockdim_kernelILi4ELi2ELi4ELi16EfEEv20rocsparse_direction_20rocsparse_operation_iiNS_24const_host_device_scalarIT3_EEPKiS7_PKS4_iiS9_lS5_PS4_l21rocsparse_index_base_b.has_indirect_call, 0
	.section	.AMDGPU.csdata,"",@progbits
; Kernel info:
; codeLenInByte = 936
; TotalNumSgprs: 44
; NumVgprs: 18
; ScratchSize: 0
; MemoryBound: 0
; FloatMode: 240
; IeeeMode: 1
; LDSByteSize: 320 bytes/workgroup (compile time only)
; SGPRBlocks: 5
; VGPRBlocks: 4
; NumSGPRsForWavesPerEU: 44
; NumVGPRsForWavesPerEU: 18
; Occupancy: 10
; WaveLimiterHint : 1
; COMPUTE_PGM_RSRC2:SCRATCH_EN: 0
; COMPUTE_PGM_RSRC2:USER_SGPR: 6
; COMPUTE_PGM_RSRC2:TRAP_HANDLER: 0
; COMPUTE_PGM_RSRC2:TGID_X_EN: 1
; COMPUTE_PGM_RSRC2:TGID_Y_EN: 1
; COMPUTE_PGM_RSRC2:TGID_Z_EN: 0
; COMPUTE_PGM_RSRC2:TIDIG_COMP_CNT: 1
	.section	.text._ZN9rocsparseL29gebsrmm_small_blockdim_kernelILi4ELi3ELi4ELi16EfEEv20rocsparse_direction_20rocsparse_operation_iiNS_24const_host_device_scalarIT3_EEPKiS7_PKS4_iiS9_lS5_PS4_l21rocsparse_index_base_b,"axG",@progbits,_ZN9rocsparseL29gebsrmm_small_blockdim_kernelILi4ELi3ELi4ELi16EfEEv20rocsparse_direction_20rocsparse_operation_iiNS_24const_host_device_scalarIT3_EEPKiS7_PKS4_iiS9_lS5_PS4_l21rocsparse_index_base_b,comdat
	.globl	_ZN9rocsparseL29gebsrmm_small_blockdim_kernelILi4ELi3ELi4ELi16EfEEv20rocsparse_direction_20rocsparse_operation_iiNS_24const_host_device_scalarIT3_EEPKiS7_PKS4_iiS9_lS5_PS4_l21rocsparse_index_base_b ; -- Begin function _ZN9rocsparseL29gebsrmm_small_blockdim_kernelILi4ELi3ELi4ELi16EfEEv20rocsparse_direction_20rocsparse_operation_iiNS_24const_host_device_scalarIT3_EEPKiS7_PKS4_iiS9_lS5_PS4_l21rocsparse_index_base_b
	.p2align	8
	.type	_ZN9rocsparseL29gebsrmm_small_blockdim_kernelILi4ELi3ELi4ELi16EfEEv20rocsparse_direction_20rocsparse_operation_iiNS_24const_host_device_scalarIT3_EEPKiS7_PKS4_iiS9_lS5_PS4_l21rocsparse_index_base_b,@function
_ZN9rocsparseL29gebsrmm_small_blockdim_kernelILi4ELi3ELi4ELi16EfEEv20rocsparse_direction_20rocsparse_operation_iiNS_24const_host_device_scalarIT3_EEPKiS7_PKS4_iiS9_lS5_PS4_l21rocsparse_index_base_b: ; @_ZN9rocsparseL29gebsrmm_small_blockdim_kernelILi4ELi3ELi4ELi16EfEEv20rocsparse_direction_20rocsparse_operation_iiNS_24const_host_device_scalarIT3_EEPKiS7_PKS4_iiS9_lS5_PS4_l21rocsparse_index_base_b
; %bb.0:
	s_load_dwordx2 s[22:23], s[4:5], 0x60
	s_load_dwordx2 s[20:21], s[4:5], 0x10
	s_load_dwordx4 s[8:11], s[4:5], 0x40
	s_waitcnt lgkmcnt(0)
	s_bitcmp1_b32 s23, 0
	s_cselect_b64 s[2:3], -1, 0
	s_xor_b64 s[0:1], s[2:3], -1
	s_and_b64 vcc, exec, s[2:3]
	s_cbranch_vccnz .LBB11_2
; %bb.1:
	s_load_dword s20, s[20:21], 0x0
.LBB11_2:
	s_andn2_b64 vcc, exec, s[0:1]
	s_cbranch_vccnz .LBB11_4
; %bb.3:
	s_load_dword s10, s[10:11], 0x0
.LBB11_4:
	s_waitcnt lgkmcnt(0)
	v_cmp_eq_f32_e64 s[0:1], s20, 0
	v_cmp_eq_f32_e64 s[2:3], s10, 1.0
	s_and_b64 s[0:1], s[0:1], s[2:3]
	s_mov_b32 s11, 0
	s_and_b64 vcc, exec, s[0:1]
	s_cbranch_vccnz .LBB11_21
; %bb.5:
	s_load_dwordx4 s[16:19], s[4:5], 0x0
	s_waitcnt lgkmcnt(0)
	s_cmp_lt_i32 s6, s18
	s_cselect_b64 s[26:27], -1, 0
	s_cmp_ge_i32 s6, s18
	s_mov_b32 s18, 0
	s_cbranch_scc1 .LBB11_7
; %bb.6:
	s_load_dwordx2 s[2:3], s[4:5], 0x18
	s_mov_b32 s0, s7
	s_ashr_i32 s7, s6, 31
	s_lshl_b64 s[12:13], s[6:7], 2
	s_mov_b32 s7, s0
	s_waitcnt lgkmcnt(0)
	s_add_u32 s0, s2, s12
	s_addc_u32 s1, s3, s13
	s_load_dwordx2 s[2:3], s[0:1], 0x0
	s_waitcnt lgkmcnt(0)
	s_sub_i32 s18, s2, s22
	s_sub_i32 s11, s3, s22
.LBB11_7:
	s_load_dwordx2 s[24:25], s[4:5], 0x50
	v_lshl_add_u32 v2, s7, 4, v1
	v_ashrrev_i32_e32 v3, 31, v2
	v_cmp_gt_i32_e64 s[0:1], s19, v2
	v_cmp_gt_u32_e64 s[2:3], 4, v0
	s_cmp_ge_i32 s18, s11
	v_mov_b32_e32 v6, 0
	s_cbranch_scc1 .LBB11_17
; %bb.8:
	s_load_dwordx4 s[12:15], s[4:5], 0x20
	s_load_dwordx2 s[36:37], s[4:5], 0x38
	v_mul_lo_u32 v9, s9, v2
	v_mul_lo_u32 v12, s8, v3
	v_mad_u64_u32 v[10:11], s[34:35], s8, v2, 0
	v_cmp_gt_u32_e32 vcc, 3, v0
	v_lshlrev_b64 v[4:5], 2, v[2:3]
	s_and_b64 s[28:29], s[0:1], vcc
	v_cmp_gt_u32_e32 vcc, 3, v1
	s_and_b64 s[30:31], s[2:3], vcc
	s_waitcnt lgkmcnt(0)
	v_mov_b32_e32 v6, s37
	v_add_co_u32_e32 v7, vcc, s36, v4
	v_add3_u32 v11, v11, v12, v9
	v_addc_co_u32_e32 v8, vcc, v6, v5, vcc
	v_lshlrev_b64 v[4:5], 2, v[10:11]
	v_lshlrev_b32_e32 v13, 2, v0
	v_add_co_u32_e32 v4, vcc, s36, v4
	v_addc_co_u32_e32 v5, vcc, v6, v5, vcc
	s_cmpk_lg_i32 s17, 0x6f
	v_add_co_u32_e32 v10, vcc, v4, v13
	s_cselect_b64 s[34:35], -1, 0
	v_addc_co_u32_e32 v11, vcc, 0, v5, vcc
	s_cmp_eq_u32 s16, 0
	v_lshl_add_u32 v14, v1, 2, v0
	v_mad_u32_u24 v4, v0, 3, v1
	s_cselect_b64 vcc, -1, 0
	v_cndmask_b32_e32 v4, v14, v4, vcc
	s_ashr_i32 s19, s18, 31
	v_mad_u64_u32 v[4:5], s[16:17], s18, 12, v[4:5]
	s_lshl_b64 s[16:17], s[18:19], 2
	v_lshlrev_b32_e32 v9, 2, v14
	s_add_u32 s12, s12, s16
	v_mov_b32_e32 v6, 0
	v_add_u32_e32 v12, 0x100, v9
	v_add_u32_e32 v13, 0x100, v13
	v_lshlrev_b32_e32 v1, 4, v1
	s_addc_u32 s13, s13, s17
	s_branch .LBB11_10
.LBB11_9:                               ;   in Loop: Header=BB11_10 Depth=1
	s_or_b64 exec, exec, s[16:17]
	s_waitcnt lgkmcnt(0)
	; wave barrier
	ds_read2_b32 v[17:18], v13 offset1:4
	ds_read_b96 v[14:16], v1
	ds_read_b32 v5, v13 offset:32
	s_add_i32 s18, s18, 1
	s_add_u32 s12, s12, 4
	s_addc_u32 s13, s13, 0
	s_waitcnt lgkmcnt(1)
	v_fmac_f32_e32 v6, v17, v14
	v_fmac_f32_e32 v6, v18, v15
	s_waitcnt lgkmcnt(0)
	v_fmac_f32_e32 v6, v5, v16
	s_cmp_ge_i32 s18, s11
	v_add_u32_e32 v4, 12, v4
	; wave barrier
	s_cbranch_scc1 .LBB11_17
.LBB11_10:                              ; =>This Inner Loop Header: Depth=1
	v_mov_b32_e32 v5, 0
	s_and_saveexec_b64 s[16:17], s[28:29]
	s_cbranch_execz .LBB11_15
; %bb.11:                               ;   in Loop: Header=BB11_10 Depth=1
	s_load_dword s7, s[12:13], 0x0
	s_mov_b64 s[38:39], -1
	s_and_b64 vcc, exec, s[34:35]
                                        ; implicit-def: $vgpr5
	s_waitcnt lgkmcnt(0)
	s_sub_i32 s7, s7, s22
	s_mul_i32 s36, s7, 3
	s_cbranch_vccz .LBB11_13
; %bb.12:                               ;   in Loop: Header=BB11_10 Depth=1
	v_add_u32_e32 v5, s36, v0
	v_ashrrev_i32_e32 v16, 31, v5
	v_mul_lo_u32 v17, s9, v5
	v_mad_u64_u32 v[14:15], s[38:39], s8, v5, 0
	v_mul_lo_u32 v5, s8, v16
	s_mov_b64 s[38:39], 0
	v_add3_u32 v15, v15, v5, v17
	v_lshlrev_b64 v[14:15], 2, v[14:15]
	v_add_co_u32_e32 v14, vcc, v7, v14
	v_addc_co_u32_e32 v15, vcc, v8, v15, vcc
	global_load_dword v5, v[14:15], off
.LBB11_13:                              ;   in Loop: Header=BB11_10 Depth=1
	s_andn2_b64 vcc, exec, s[38:39]
	s_cbranch_vccnz .LBB11_15
; %bb.14:                               ;   in Loop: Header=BB11_10 Depth=1
	s_ashr_i32 s37, s36, 31
	s_lshl_b64 s[36:37], s[36:37], 2
	s_waitcnt vmcnt(0)
	v_mov_b32_e32 v5, s37
	v_add_co_u32_e32 v14, vcc, s36, v10
	v_addc_co_u32_e32 v15, vcc, v11, v5, vcc
	global_load_dword v5, v[14:15], off
.LBB11_15:                              ;   in Loop: Header=BB11_10 Depth=1
	s_or_b64 exec, exec, s[16:17]
	s_waitcnt vmcnt(0)
	ds_write_b32 v9, v5
	s_and_saveexec_b64 s[16:17], s[30:31]
	s_cbranch_execz .LBB11_9
; %bb.16:                               ;   in Loop: Header=BB11_10 Depth=1
	v_ashrrev_i32_e32 v5, 31, v4
	v_lshlrev_b64 v[14:15], 2, v[4:5]
	v_mov_b32_e32 v5, s15
	v_add_co_u32_e32 v14, vcc, s14, v14
	v_addc_co_u32_e32 v15, vcc, v5, v15, vcc
	global_load_dword v5, v[14:15], off
	s_waitcnt vmcnt(0)
	ds_write_b32 v12, v5
	s_branch .LBB11_9
.LBB11_17:
	s_and_b64 s[0:1], s[26:27], s[0:1]
	s_and_b64 s[0:1], s[0:1], s[2:3]
	s_and_saveexec_b64 s[2:3], s[0:1]
	s_cbranch_execz .LBB11_21
; %bb.18:
	s_load_dwordx2 s[0:1], s[4:5], 0x58
	v_lshl_add_u32 v0, s6, 2, v0
	v_ashrrev_i32_e32 v1, 31, v0
	s_waitcnt lgkmcnt(0)
	v_mul_lo_u32 v4, s1, v2
	v_mul_lo_u32 v5, s0, v3
	v_mad_u64_u32 v[2:3], s[0:1], s0, v2, 0
	v_cmp_neq_f32_e64 s[0:1], s10, 0
	s_and_b64 vcc, exec, s[0:1]
	v_add3_u32 v3, v3, v5, v4
	v_lshlrev_b64 v[2:3], 2, v[2:3]
	v_mul_f32_e32 v4, s20, v6
	s_cbranch_vccz .LBB11_22
; %bb.19:
	v_mov_b32_e32 v5, s25
	v_add_co_u32_e32 v7, vcc, s24, v2
	v_addc_co_u32_e32 v8, vcc, v5, v3, vcc
	v_lshlrev_b64 v[5:6], 2, v[0:1]
	v_add_co_u32_e32 v5, vcc, v7, v5
	v_addc_co_u32_e32 v6, vcc, v8, v6, vcc
	global_load_dword v7, v[5:6], off
	s_waitcnt vmcnt(0)
	v_fma_f32 v7, s10, v7, v4
	global_store_dword v[5:6], v7, off
	s_cbranch_execnz .LBB11_21
.LBB11_20:
	v_mov_b32_e32 v5, s25
	v_add_co_u32_e32 v2, vcc, s24, v2
	v_lshlrev_b64 v[0:1], 2, v[0:1]
	v_addc_co_u32_e32 v3, vcc, v5, v3, vcc
	v_add_co_u32_e32 v0, vcc, v2, v0
	v_addc_co_u32_e32 v1, vcc, v3, v1, vcc
	global_store_dword v[0:1], v4, off
.LBB11_21:
	s_endpgm
.LBB11_22:
	s_branch .LBB11_20
	.section	.rodata,"a",@progbits
	.p2align	6, 0x0
	.amdhsa_kernel _ZN9rocsparseL29gebsrmm_small_blockdim_kernelILi4ELi3ELi4ELi16EfEEv20rocsparse_direction_20rocsparse_operation_iiNS_24const_host_device_scalarIT3_EEPKiS7_PKS4_iiS9_lS5_PS4_l21rocsparse_index_base_b
		.amdhsa_group_segment_fixed_size 320
		.amdhsa_private_segment_fixed_size 0
		.amdhsa_kernarg_size 104
		.amdhsa_user_sgpr_count 6
		.amdhsa_user_sgpr_private_segment_buffer 1
		.amdhsa_user_sgpr_dispatch_ptr 0
		.amdhsa_user_sgpr_queue_ptr 0
		.amdhsa_user_sgpr_kernarg_segment_ptr 1
		.amdhsa_user_sgpr_dispatch_id 0
		.amdhsa_user_sgpr_flat_scratch_init 0
		.amdhsa_user_sgpr_private_segment_size 0
		.amdhsa_uses_dynamic_stack 0
		.amdhsa_system_sgpr_private_segment_wavefront_offset 0
		.amdhsa_system_sgpr_workgroup_id_x 1
		.amdhsa_system_sgpr_workgroup_id_y 1
		.amdhsa_system_sgpr_workgroup_id_z 0
		.amdhsa_system_sgpr_workgroup_info 0
		.amdhsa_system_vgpr_workitem_id 1
		.amdhsa_next_free_vgpr 19
		.amdhsa_next_free_sgpr 40
		.amdhsa_reserve_vcc 1
		.amdhsa_reserve_flat_scratch 0
		.amdhsa_float_round_mode_32 0
		.amdhsa_float_round_mode_16_64 0
		.amdhsa_float_denorm_mode_32 3
		.amdhsa_float_denorm_mode_16_64 3
		.amdhsa_dx10_clamp 1
		.amdhsa_ieee_mode 1
		.amdhsa_fp16_overflow 0
		.amdhsa_exception_fp_ieee_invalid_op 0
		.amdhsa_exception_fp_denorm_src 0
		.amdhsa_exception_fp_ieee_div_zero 0
		.amdhsa_exception_fp_ieee_overflow 0
		.amdhsa_exception_fp_ieee_underflow 0
		.amdhsa_exception_fp_ieee_inexact 0
		.amdhsa_exception_int_div_zero 0
	.end_amdhsa_kernel
	.section	.text._ZN9rocsparseL29gebsrmm_small_blockdim_kernelILi4ELi3ELi4ELi16EfEEv20rocsparse_direction_20rocsparse_operation_iiNS_24const_host_device_scalarIT3_EEPKiS7_PKS4_iiS9_lS5_PS4_l21rocsparse_index_base_b,"axG",@progbits,_ZN9rocsparseL29gebsrmm_small_blockdim_kernelILi4ELi3ELi4ELi16EfEEv20rocsparse_direction_20rocsparse_operation_iiNS_24const_host_device_scalarIT3_EEPKiS7_PKS4_iiS9_lS5_PS4_l21rocsparse_index_base_b,comdat
.Lfunc_end11:
	.size	_ZN9rocsparseL29gebsrmm_small_blockdim_kernelILi4ELi3ELi4ELi16EfEEv20rocsparse_direction_20rocsparse_operation_iiNS_24const_host_device_scalarIT3_EEPKiS7_PKS4_iiS9_lS5_PS4_l21rocsparse_index_base_b, .Lfunc_end11-_ZN9rocsparseL29gebsrmm_small_blockdim_kernelILi4ELi3ELi4ELi16EfEEv20rocsparse_direction_20rocsparse_operation_iiNS_24const_host_device_scalarIT3_EEPKiS7_PKS4_iiS9_lS5_PS4_l21rocsparse_index_base_b
                                        ; -- End function
	.set _ZN9rocsparseL29gebsrmm_small_blockdim_kernelILi4ELi3ELi4ELi16EfEEv20rocsparse_direction_20rocsparse_operation_iiNS_24const_host_device_scalarIT3_EEPKiS7_PKS4_iiS9_lS5_PS4_l21rocsparse_index_base_b.num_vgpr, 19
	.set _ZN9rocsparseL29gebsrmm_small_blockdim_kernelILi4ELi3ELi4ELi16EfEEv20rocsparse_direction_20rocsparse_operation_iiNS_24const_host_device_scalarIT3_EEPKiS7_PKS4_iiS9_lS5_PS4_l21rocsparse_index_base_b.num_agpr, 0
	.set _ZN9rocsparseL29gebsrmm_small_blockdim_kernelILi4ELi3ELi4ELi16EfEEv20rocsparse_direction_20rocsparse_operation_iiNS_24const_host_device_scalarIT3_EEPKiS7_PKS4_iiS9_lS5_PS4_l21rocsparse_index_base_b.numbered_sgpr, 40
	.set _ZN9rocsparseL29gebsrmm_small_blockdim_kernelILi4ELi3ELi4ELi16EfEEv20rocsparse_direction_20rocsparse_operation_iiNS_24const_host_device_scalarIT3_EEPKiS7_PKS4_iiS9_lS5_PS4_l21rocsparse_index_base_b.num_named_barrier, 0
	.set _ZN9rocsparseL29gebsrmm_small_blockdim_kernelILi4ELi3ELi4ELi16EfEEv20rocsparse_direction_20rocsparse_operation_iiNS_24const_host_device_scalarIT3_EEPKiS7_PKS4_iiS9_lS5_PS4_l21rocsparse_index_base_b.private_seg_size, 0
	.set _ZN9rocsparseL29gebsrmm_small_blockdim_kernelILi4ELi3ELi4ELi16EfEEv20rocsparse_direction_20rocsparse_operation_iiNS_24const_host_device_scalarIT3_EEPKiS7_PKS4_iiS9_lS5_PS4_l21rocsparse_index_base_b.uses_vcc, 1
	.set _ZN9rocsparseL29gebsrmm_small_blockdim_kernelILi4ELi3ELi4ELi16EfEEv20rocsparse_direction_20rocsparse_operation_iiNS_24const_host_device_scalarIT3_EEPKiS7_PKS4_iiS9_lS5_PS4_l21rocsparse_index_base_b.uses_flat_scratch, 0
	.set _ZN9rocsparseL29gebsrmm_small_blockdim_kernelILi4ELi3ELi4ELi16EfEEv20rocsparse_direction_20rocsparse_operation_iiNS_24const_host_device_scalarIT3_EEPKiS7_PKS4_iiS9_lS5_PS4_l21rocsparse_index_base_b.has_dyn_sized_stack, 0
	.set _ZN9rocsparseL29gebsrmm_small_blockdim_kernelILi4ELi3ELi4ELi16EfEEv20rocsparse_direction_20rocsparse_operation_iiNS_24const_host_device_scalarIT3_EEPKiS7_PKS4_iiS9_lS5_PS4_l21rocsparse_index_base_b.has_recursion, 0
	.set _ZN9rocsparseL29gebsrmm_small_blockdim_kernelILi4ELi3ELi4ELi16EfEEv20rocsparse_direction_20rocsparse_operation_iiNS_24const_host_device_scalarIT3_EEPKiS7_PKS4_iiS9_lS5_PS4_l21rocsparse_index_base_b.has_indirect_call, 0
	.section	.AMDGPU.csdata,"",@progbits
; Kernel info:
; codeLenInByte = 956
; TotalNumSgprs: 44
; NumVgprs: 19
; ScratchSize: 0
; MemoryBound: 0
; FloatMode: 240
; IeeeMode: 1
; LDSByteSize: 320 bytes/workgroup (compile time only)
; SGPRBlocks: 5
; VGPRBlocks: 4
; NumSGPRsForWavesPerEU: 44
; NumVGPRsForWavesPerEU: 19
; Occupancy: 10
; WaveLimiterHint : 1
; COMPUTE_PGM_RSRC2:SCRATCH_EN: 0
; COMPUTE_PGM_RSRC2:USER_SGPR: 6
; COMPUTE_PGM_RSRC2:TRAP_HANDLER: 0
; COMPUTE_PGM_RSRC2:TGID_X_EN: 1
; COMPUTE_PGM_RSRC2:TGID_Y_EN: 1
; COMPUTE_PGM_RSRC2:TGID_Z_EN: 0
; COMPUTE_PGM_RSRC2:TIDIG_COMP_CNT: 1
	.section	.text._ZN9rocsparseL29gebsrmm_small_blockdim_kernelILi1ELi2ELi2ELi16EdEEv20rocsparse_direction_20rocsparse_operation_iiNS_24const_host_device_scalarIT3_EEPKiS7_PKS4_iiS9_lS5_PS4_l21rocsparse_index_base_b,"axG",@progbits,_ZN9rocsparseL29gebsrmm_small_blockdim_kernelILi1ELi2ELi2ELi16EdEEv20rocsparse_direction_20rocsparse_operation_iiNS_24const_host_device_scalarIT3_EEPKiS7_PKS4_iiS9_lS5_PS4_l21rocsparse_index_base_b,comdat
	.globl	_ZN9rocsparseL29gebsrmm_small_blockdim_kernelILi1ELi2ELi2ELi16EdEEv20rocsparse_direction_20rocsparse_operation_iiNS_24const_host_device_scalarIT3_EEPKiS7_PKS4_iiS9_lS5_PS4_l21rocsparse_index_base_b ; -- Begin function _ZN9rocsparseL29gebsrmm_small_blockdim_kernelILi1ELi2ELi2ELi16EdEEv20rocsparse_direction_20rocsparse_operation_iiNS_24const_host_device_scalarIT3_EEPKiS7_PKS4_iiS9_lS5_PS4_l21rocsparse_index_base_b
	.p2align	8
	.type	_ZN9rocsparseL29gebsrmm_small_blockdim_kernelILi1ELi2ELi2ELi16EdEEv20rocsparse_direction_20rocsparse_operation_iiNS_24const_host_device_scalarIT3_EEPKiS7_PKS4_iiS9_lS5_PS4_l21rocsparse_index_base_b,@function
_ZN9rocsparseL29gebsrmm_small_blockdim_kernelILi1ELi2ELi2ELi16EdEEv20rocsparse_direction_20rocsparse_operation_iiNS_24const_host_device_scalarIT3_EEPKiS7_PKS4_iiS9_lS5_PS4_l21rocsparse_index_base_b: ; @_ZN9rocsparseL29gebsrmm_small_blockdim_kernelILi1ELi2ELi2ELi16EdEEv20rocsparse_direction_20rocsparse_operation_iiNS_24const_host_device_scalarIT3_EEPKiS7_PKS4_iiS9_lS5_PS4_l21rocsparse_index_base_b
; %bb.0:
	s_load_dwordx2 s[20:21], s[4:5], 0x60
	s_load_dwordx2 s[2:3], s[4:5], 0x10
	s_load_dwordx4 s[8:11], s[4:5], 0x40
	s_waitcnt lgkmcnt(0)
	s_bitcmp1_b32 s21, 0
	s_cselect_b64 s[12:13], -1, 0
	v_mov_b32_e32 v5, s3
	s_xor_b64 s[0:1], s[12:13], -1
	s_and_b64 vcc, exec, s[12:13]
	v_mov_b32_e32 v4, s2
	s_cbranch_vccnz .LBB12_2
; %bb.1:
	v_mov_b32_e32 v2, s2
	v_mov_b32_e32 v3, s3
	flat_load_dwordx2 v[4:5], v[2:3]
.LBB12_2:
	v_mov_b32_e32 v2, s10
	s_andn2_b64 vcc, exec, s[0:1]
	v_mov_b32_e32 v3, s11
	s_cbranch_vccnz .LBB12_4
; %bb.3:
	v_mov_b32_e32 v2, s10
	v_mov_b32_e32 v3, s11
	flat_load_dwordx2 v[2:3], v[2:3]
.LBB12_4:
	s_waitcnt vmcnt(0) lgkmcnt(0)
	v_cmp_neq_f64_e32 vcc, 0, v[4:5]
	v_cmp_neq_f64_e64 s[0:1], 1.0, v[2:3]
	s_or_b64 s[0:1], vcc, s[0:1]
	s_and_saveexec_b64 s[2:3], s[0:1]
	s_cbranch_execz .LBB12_22
; %bb.5:
	s_load_dwordx4 s[16:19], s[4:5], 0x4
	s_mov_b32 s21, 0
	s_mov_b32 s24, 0
	s_waitcnt lgkmcnt(0)
	s_cmp_lt_i32 s6, s17
	s_cselect_b64 s[22:23], -1, 0
	s_cmp_ge_i32 s6, s17
	s_cbranch_scc1 .LBB12_7
; %bb.6:
	s_load_dwordx2 s[2:3], s[4:5], 0x18
	s_mov_b32 s0, s7
	s_ashr_i32 s7, s6, 31
	s_lshl_b64 s[10:11], s[6:7], 2
	s_mov_b32 s7, s0
	s_waitcnt lgkmcnt(0)
	s_add_u32 s0, s2, s10
	s_addc_u32 s1, s3, s11
	s_load_dwordx2 s[2:3], s[0:1], 0x0
	s_waitcnt lgkmcnt(0)
	s_sub_i32 s24, s2, s20
	s_sub_i32 s21, s3, s20
.LBB12_7:
	s_load_dwordx2 s[10:11], s[4:5], 0x50
	v_lshl_add_u32 v6, s7, 4, v1
	v_mov_b32_e32 v8, 0
	v_ashrrev_i32_e32 v7, 31, v6
	v_cmp_gt_i32_e64 s[0:1], s18, v6
	v_mov_b32_e32 v9, 0
	s_cmp_ge_i32 s24, s21
	v_cmp_eq_u32_e64 s[2:3], 0, v0
	s_cbranch_scc1 .LBB12_17
; %bb.8:
	s_load_dwordx4 s[12:15], s[4:5], 0x20
	s_load_dwordx2 s[28:29], s[4:5], 0x38
	v_mul_lo_u32 v15, s9, v6
	v_mul_lo_u32 v16, s8, v7
	v_mad_u64_u32 v[10:11], s[30:31], s8, v6, 0
	v_cmp_gt_u32_e32 vcc, 2, v0
	v_lshlrev_b64 v[8:9], 3, v[6:7]
	s_and_b64 s[18:19], s[0:1], vcc
	v_cmp_gt_u32_e32 vcc, 2, v1
	s_and_b64 s[26:27], s[2:3], vcc
	s_waitcnt lgkmcnt(0)
	v_mov_b32_e32 v12, s29
	v_add_co_u32_e32 v13, vcc, s28, v8
	v_add3_u32 v11, v11, v16, v15
	v_lshlrev_b32_e32 v8, 1, v1
	v_addc_co_u32_e32 v14, vcc, v12, v9, vcc
	v_add_lshl_u32 v15, v8, v0, 3
	v_lshlrev_b64 v[8:9], 3, v[10:11]
	s_cmpk_lg_i32 s16, 0x6f
	v_mov_b32_e32 v10, s29
	v_add_co_u32_e32 v8, vcc, s28, v8
	s_cselect_b64 s[16:17], -1, 0
	v_addc_co_u32_e32 v9, vcc, v10, v9, vcc
	v_lshlrev_b32_e32 v10, 3, v0
	s_ashr_i32 s25, s24, 31
	v_add_co_u32_e32 v16, vcc, v8, v10
	s_lshl_b64 s[28:29], s[24:25], 2
	v_addc_co_u32_e32 v17, vcc, 0, v9, vcc
	s_add_u32 s12, s12, s28
	v_mov_b32_e32 v8, 0
	v_add_u32_e32 v18, 0x100, v15
	v_add_u32_e32 v19, 0x100, v10
	v_lshlrev_b32_e32 v20, 4, v1
	s_addc_u32 s13, s13, s29
	v_mov_b32_e32 v9, 0
	v_lshl_add_u32 v10, s24, 1, v1
	s_branch .LBB12_10
.LBB12_9:                               ;   in Loop: Header=BB12_10 Depth=1
	s_or_b64 exec, exec, s[28:29]
	s_waitcnt lgkmcnt(0)
	; wave barrier
	ds_read_b128 v[21:24], v20
	ds_read2_b64 v[25:28], v19 offset1:2
	s_add_i32 s24, s24, 1
	s_add_u32 s12, s12, 4
	s_addc_u32 s13, s13, 0
	s_cmp_ge_i32 s24, s21
	s_waitcnt lgkmcnt(0)
	v_fma_f64 v[8:9], v[25:26], v[21:22], v[8:9]
	v_add_u32_e32 v10, 2, v10
	; wave barrier
	v_fma_f64 v[8:9], v[27:28], v[23:24], v[8:9]
	s_cbranch_scc1 .LBB12_17
.LBB12_10:                              ; =>This Inner Loop Header: Depth=1
	v_mov_b32_e32 v11, 0
	v_mov_b32_e32 v12, 0
	s_and_saveexec_b64 s[28:29], s[18:19]
	s_cbranch_execz .LBB12_15
; %bb.11:                               ;   in Loop: Header=BB12_10 Depth=1
	s_load_dword s7, s[12:13], 0x0
	s_mov_b64 s[34:35], -1
	s_and_b64 vcc, exec, s[16:17]
                                        ; implicit-def: $vgpr11_vgpr12
	s_waitcnt lgkmcnt(0)
	s_sub_i32 s7, s7, s20
	s_lshl_b32 s30, s7, 1
	s_cbranch_vccz .LBB12_13
; %bb.12:                               ;   in Loop: Header=BB12_10 Depth=1
	v_or_b32_e32 v1, s30, v0
	v_mul_lo_u32 v21, s9, v1
	v_mad_u64_u32 v[11:12], s[34:35], s8, v1, 0
	s_ashr_i32 s7, s30, 31
	s_mul_i32 s7, s8, s7
	v_add3_u32 v12, v12, s7, v21
	v_lshlrev_b64 v[11:12], 3, v[11:12]
	s_mov_b64 s[34:35], 0
	v_add_co_u32_e32 v11, vcc, v13, v11
	v_addc_co_u32_e32 v12, vcc, v14, v12, vcc
	global_load_dwordx2 v[11:12], v[11:12], off
.LBB12_13:                              ;   in Loop: Header=BB12_10 Depth=1
	s_andn2_b64 vcc, exec, s[34:35]
	s_cbranch_vccnz .LBB12_15
; %bb.14:                               ;   in Loop: Header=BB12_10 Depth=1
	s_ashr_i32 s31, s30, 31
	s_lshl_b64 s[30:31], s[30:31], 3
	v_mov_b32_e32 v1, s31
	s_waitcnt vmcnt(0)
	v_add_co_u32_e32 v11, vcc, s30, v16
	v_addc_co_u32_e32 v12, vcc, v17, v1, vcc
	global_load_dwordx2 v[11:12], v[11:12], off
.LBB12_15:                              ;   in Loop: Header=BB12_10 Depth=1
	s_or_b64 exec, exec, s[28:29]
	s_waitcnt vmcnt(0)
	ds_write_b64 v15, v[11:12]
	s_and_saveexec_b64 s[28:29], s[26:27]
	s_cbranch_execz .LBB12_9
; %bb.16:                               ;   in Loop: Header=BB12_10 Depth=1
	v_ashrrev_i32_e32 v11, 31, v10
	v_lshlrev_b64 v[11:12], 3, v[10:11]
	v_mov_b32_e32 v1, s15
	v_add_co_u32_e32 v11, vcc, s14, v11
	v_addc_co_u32_e32 v12, vcc, v1, v12, vcc
	global_load_dwordx2 v[11:12], v[11:12], off
	s_waitcnt vmcnt(0)
	ds_write_b64 v18, v[11:12]
	s_branch .LBB12_9
.LBB12_17:
	s_and_b64 s[0:1], s[2:3], s[0:1]
	s_and_b64 s[0:1], s[22:23], s[0:1]
	s_and_b64 exec, exec, s[0:1]
	s_cbranch_execz .LBB12_22
; %bb.18:
	s_load_dwordx2 s[0:1], s[4:5], 0x58
	v_cmp_neq_f64_e32 vcc, 0, v[2:3]
	v_mul_f64 v[4:5], v[4:5], v[8:9]
	v_add_u32_e32 v0, s6, v0
	s_waitcnt lgkmcnt(0)
	v_mul_lo_u32 v1, s1, v6
	v_mul_lo_u32 v8, s0, v7
	v_mad_u64_u32 v[6:7], s[0:1], s0, v6, 0
	v_add3_u32 v7, v7, v8, v1
	v_lshlrev_b64 v[6:7], 3, v[6:7]
	v_ashrrev_i32_e32 v1, 31, v0
	s_and_saveexec_b64 s[0:1], vcc
	s_xor_b64 s[0:1], exec, s[0:1]
	s_cbranch_execz .LBB12_20
; %bb.19:
	v_mov_b32_e32 v8, s11
	v_add_co_u32_e32 v6, vcc, s10, v6
	v_lshlrev_b64 v[0:1], 3, v[0:1]
	v_addc_co_u32_e32 v7, vcc, v8, v7, vcc
	v_add_co_u32_e32 v0, vcc, v6, v0
	v_addc_co_u32_e32 v1, vcc, v7, v1, vcc
	global_load_dwordx2 v[6:7], v[0:1], off
	s_waitcnt vmcnt(0)
	v_fma_f64 v[2:3], v[2:3], v[6:7], v[4:5]
                                        ; implicit-def: $vgpr6_vgpr7
                                        ; implicit-def: $vgpr4_vgpr5
	global_store_dwordx2 v[0:1], v[2:3], off
                                        ; implicit-def: $vgpr0
.LBB12_20:
	s_andn2_saveexec_b64 s[0:1], s[0:1]
	s_cbranch_execz .LBB12_22
; %bb.21:
	v_mov_b32_e32 v2, s11
	v_add_co_u32_e32 v3, vcc, s10, v6
	v_lshlrev_b64 v[0:1], 3, v[0:1]
	v_addc_co_u32_e32 v2, vcc, v2, v7, vcc
	v_add_co_u32_e32 v0, vcc, v3, v0
	v_addc_co_u32_e32 v1, vcc, v2, v1, vcc
	global_store_dwordx2 v[0:1], v[4:5], off
.LBB12_22:
	s_endpgm
	.section	.rodata,"a",@progbits
	.p2align	6, 0x0
	.amdhsa_kernel _ZN9rocsparseL29gebsrmm_small_blockdim_kernelILi1ELi2ELi2ELi16EdEEv20rocsparse_direction_20rocsparse_operation_iiNS_24const_host_device_scalarIT3_EEPKiS7_PKS4_iiS9_lS5_PS4_l21rocsparse_index_base_b
		.amdhsa_group_segment_fixed_size 288
		.amdhsa_private_segment_fixed_size 0
		.amdhsa_kernarg_size 104
		.amdhsa_user_sgpr_count 6
		.amdhsa_user_sgpr_private_segment_buffer 1
		.amdhsa_user_sgpr_dispatch_ptr 0
		.amdhsa_user_sgpr_queue_ptr 0
		.amdhsa_user_sgpr_kernarg_segment_ptr 1
		.amdhsa_user_sgpr_dispatch_id 0
		.amdhsa_user_sgpr_flat_scratch_init 0
		.amdhsa_user_sgpr_private_segment_size 0
		.amdhsa_uses_dynamic_stack 0
		.amdhsa_system_sgpr_private_segment_wavefront_offset 0
		.amdhsa_system_sgpr_workgroup_id_x 1
		.amdhsa_system_sgpr_workgroup_id_y 1
		.amdhsa_system_sgpr_workgroup_id_z 0
		.amdhsa_system_sgpr_workgroup_info 0
		.amdhsa_system_vgpr_workitem_id 1
		.amdhsa_next_free_vgpr 29
		.amdhsa_next_free_sgpr 36
		.amdhsa_reserve_vcc 1
		.amdhsa_reserve_flat_scratch 0
		.amdhsa_float_round_mode_32 0
		.amdhsa_float_round_mode_16_64 0
		.amdhsa_float_denorm_mode_32 3
		.amdhsa_float_denorm_mode_16_64 3
		.amdhsa_dx10_clamp 1
		.amdhsa_ieee_mode 1
		.amdhsa_fp16_overflow 0
		.amdhsa_exception_fp_ieee_invalid_op 0
		.amdhsa_exception_fp_denorm_src 0
		.amdhsa_exception_fp_ieee_div_zero 0
		.amdhsa_exception_fp_ieee_overflow 0
		.amdhsa_exception_fp_ieee_underflow 0
		.amdhsa_exception_fp_ieee_inexact 0
		.amdhsa_exception_int_div_zero 0
	.end_amdhsa_kernel
	.section	.text._ZN9rocsparseL29gebsrmm_small_blockdim_kernelILi1ELi2ELi2ELi16EdEEv20rocsparse_direction_20rocsparse_operation_iiNS_24const_host_device_scalarIT3_EEPKiS7_PKS4_iiS9_lS5_PS4_l21rocsparse_index_base_b,"axG",@progbits,_ZN9rocsparseL29gebsrmm_small_blockdim_kernelILi1ELi2ELi2ELi16EdEEv20rocsparse_direction_20rocsparse_operation_iiNS_24const_host_device_scalarIT3_EEPKiS7_PKS4_iiS9_lS5_PS4_l21rocsparse_index_base_b,comdat
.Lfunc_end12:
	.size	_ZN9rocsparseL29gebsrmm_small_blockdim_kernelILi1ELi2ELi2ELi16EdEEv20rocsparse_direction_20rocsparse_operation_iiNS_24const_host_device_scalarIT3_EEPKiS7_PKS4_iiS9_lS5_PS4_l21rocsparse_index_base_b, .Lfunc_end12-_ZN9rocsparseL29gebsrmm_small_blockdim_kernelILi1ELi2ELi2ELi16EdEEv20rocsparse_direction_20rocsparse_operation_iiNS_24const_host_device_scalarIT3_EEPKiS7_PKS4_iiS9_lS5_PS4_l21rocsparse_index_base_b
                                        ; -- End function
	.set _ZN9rocsparseL29gebsrmm_small_blockdim_kernelILi1ELi2ELi2ELi16EdEEv20rocsparse_direction_20rocsparse_operation_iiNS_24const_host_device_scalarIT3_EEPKiS7_PKS4_iiS9_lS5_PS4_l21rocsparse_index_base_b.num_vgpr, 29
	.set _ZN9rocsparseL29gebsrmm_small_blockdim_kernelILi1ELi2ELi2ELi16EdEEv20rocsparse_direction_20rocsparse_operation_iiNS_24const_host_device_scalarIT3_EEPKiS7_PKS4_iiS9_lS5_PS4_l21rocsparse_index_base_b.num_agpr, 0
	.set _ZN9rocsparseL29gebsrmm_small_blockdim_kernelILi1ELi2ELi2ELi16EdEEv20rocsparse_direction_20rocsparse_operation_iiNS_24const_host_device_scalarIT3_EEPKiS7_PKS4_iiS9_lS5_PS4_l21rocsparse_index_base_b.numbered_sgpr, 36
	.set _ZN9rocsparseL29gebsrmm_small_blockdim_kernelILi1ELi2ELi2ELi16EdEEv20rocsparse_direction_20rocsparse_operation_iiNS_24const_host_device_scalarIT3_EEPKiS7_PKS4_iiS9_lS5_PS4_l21rocsparse_index_base_b.num_named_barrier, 0
	.set _ZN9rocsparseL29gebsrmm_small_blockdim_kernelILi1ELi2ELi2ELi16EdEEv20rocsparse_direction_20rocsparse_operation_iiNS_24const_host_device_scalarIT3_EEPKiS7_PKS4_iiS9_lS5_PS4_l21rocsparse_index_base_b.private_seg_size, 0
	.set _ZN9rocsparseL29gebsrmm_small_blockdim_kernelILi1ELi2ELi2ELi16EdEEv20rocsparse_direction_20rocsparse_operation_iiNS_24const_host_device_scalarIT3_EEPKiS7_PKS4_iiS9_lS5_PS4_l21rocsparse_index_base_b.uses_vcc, 1
	.set _ZN9rocsparseL29gebsrmm_small_blockdim_kernelILi1ELi2ELi2ELi16EdEEv20rocsparse_direction_20rocsparse_operation_iiNS_24const_host_device_scalarIT3_EEPKiS7_PKS4_iiS9_lS5_PS4_l21rocsparse_index_base_b.uses_flat_scratch, 0
	.set _ZN9rocsparseL29gebsrmm_small_blockdim_kernelILi1ELi2ELi2ELi16EdEEv20rocsparse_direction_20rocsparse_operation_iiNS_24const_host_device_scalarIT3_EEPKiS7_PKS4_iiS9_lS5_PS4_l21rocsparse_index_base_b.has_dyn_sized_stack, 0
	.set _ZN9rocsparseL29gebsrmm_small_blockdim_kernelILi1ELi2ELi2ELi16EdEEv20rocsparse_direction_20rocsparse_operation_iiNS_24const_host_device_scalarIT3_EEPKiS7_PKS4_iiS9_lS5_PS4_l21rocsparse_index_base_b.has_recursion, 0
	.set _ZN9rocsparseL29gebsrmm_small_blockdim_kernelILi1ELi2ELi2ELi16EdEEv20rocsparse_direction_20rocsparse_operation_iiNS_24const_host_device_scalarIT3_EEPKiS7_PKS4_iiS9_lS5_PS4_l21rocsparse_index_base_b.has_indirect_call, 0
	.section	.AMDGPU.csdata,"",@progbits
; Kernel info:
; codeLenInByte = 968
; TotalNumSgprs: 40
; NumVgprs: 29
; ScratchSize: 0
; MemoryBound: 0
; FloatMode: 240
; IeeeMode: 1
; LDSByteSize: 288 bytes/workgroup (compile time only)
; SGPRBlocks: 4
; VGPRBlocks: 7
; NumSGPRsForWavesPerEU: 40
; NumVGPRsForWavesPerEU: 29
; Occupancy: 8
; WaveLimiterHint : 1
; COMPUTE_PGM_RSRC2:SCRATCH_EN: 0
; COMPUTE_PGM_RSRC2:USER_SGPR: 6
; COMPUTE_PGM_RSRC2:TRAP_HANDLER: 0
; COMPUTE_PGM_RSRC2:TGID_X_EN: 1
; COMPUTE_PGM_RSRC2:TGID_Y_EN: 1
; COMPUTE_PGM_RSRC2:TGID_Z_EN: 0
; COMPUTE_PGM_RSRC2:TIDIG_COMP_CNT: 1
	.section	.text._ZN9rocsparseL29gebsrmm_small_blockdim_kernelILi1ELi3ELi3ELi16EdEEv20rocsparse_direction_20rocsparse_operation_iiNS_24const_host_device_scalarIT3_EEPKiS7_PKS4_iiS9_lS5_PS4_l21rocsparse_index_base_b,"axG",@progbits,_ZN9rocsparseL29gebsrmm_small_blockdim_kernelILi1ELi3ELi3ELi16EdEEv20rocsparse_direction_20rocsparse_operation_iiNS_24const_host_device_scalarIT3_EEPKiS7_PKS4_iiS9_lS5_PS4_l21rocsparse_index_base_b,comdat
	.globl	_ZN9rocsparseL29gebsrmm_small_blockdim_kernelILi1ELi3ELi3ELi16EdEEv20rocsparse_direction_20rocsparse_operation_iiNS_24const_host_device_scalarIT3_EEPKiS7_PKS4_iiS9_lS5_PS4_l21rocsparse_index_base_b ; -- Begin function _ZN9rocsparseL29gebsrmm_small_blockdim_kernelILi1ELi3ELi3ELi16EdEEv20rocsparse_direction_20rocsparse_operation_iiNS_24const_host_device_scalarIT3_EEPKiS7_PKS4_iiS9_lS5_PS4_l21rocsparse_index_base_b
	.p2align	8
	.type	_ZN9rocsparseL29gebsrmm_small_blockdim_kernelILi1ELi3ELi3ELi16EdEEv20rocsparse_direction_20rocsparse_operation_iiNS_24const_host_device_scalarIT3_EEPKiS7_PKS4_iiS9_lS5_PS4_l21rocsparse_index_base_b,@function
_ZN9rocsparseL29gebsrmm_small_blockdim_kernelILi1ELi3ELi3ELi16EdEEv20rocsparse_direction_20rocsparse_operation_iiNS_24const_host_device_scalarIT3_EEPKiS7_PKS4_iiS9_lS5_PS4_l21rocsparse_index_base_b: ; @_ZN9rocsparseL29gebsrmm_small_blockdim_kernelILi1ELi3ELi3ELi16EdEEv20rocsparse_direction_20rocsparse_operation_iiNS_24const_host_device_scalarIT3_EEPKiS7_PKS4_iiS9_lS5_PS4_l21rocsparse_index_base_b
; %bb.0:
	s_load_dwordx2 s[20:21], s[4:5], 0x60
	s_load_dwordx2 s[2:3], s[4:5], 0x10
	s_load_dwordx4 s[8:11], s[4:5], 0x40
	s_waitcnt lgkmcnt(0)
	s_bitcmp1_b32 s21, 0
	s_cselect_b64 s[12:13], -1, 0
	v_mov_b32_e32 v5, s3
	s_xor_b64 s[0:1], s[12:13], -1
	s_and_b64 vcc, exec, s[12:13]
	v_mov_b32_e32 v4, s2
	s_cbranch_vccnz .LBB13_2
; %bb.1:
	v_mov_b32_e32 v2, s2
	v_mov_b32_e32 v3, s3
	flat_load_dwordx2 v[4:5], v[2:3]
.LBB13_2:
	v_mov_b32_e32 v2, s10
	s_andn2_b64 vcc, exec, s[0:1]
	v_mov_b32_e32 v3, s11
	s_cbranch_vccnz .LBB13_4
; %bb.3:
	v_mov_b32_e32 v2, s10
	v_mov_b32_e32 v3, s11
	flat_load_dwordx2 v[2:3], v[2:3]
.LBB13_4:
	s_waitcnt vmcnt(0) lgkmcnt(0)
	v_cmp_neq_f64_e32 vcc, 0, v[4:5]
	v_cmp_neq_f64_e64 s[0:1], 1.0, v[2:3]
	s_or_b64 s[0:1], vcc, s[0:1]
	s_and_saveexec_b64 s[2:3], s[0:1]
	s_cbranch_execz .LBB13_22
; %bb.5:
	s_load_dwordx4 s[16:19], s[4:5], 0x4
	s_mov_b32 s21, 0
	s_mov_b32 s24, 0
	s_waitcnt lgkmcnt(0)
	s_cmp_lt_i32 s6, s17
	s_cselect_b64 s[22:23], -1, 0
	s_cmp_ge_i32 s6, s17
	s_cbranch_scc1 .LBB13_7
; %bb.6:
	s_load_dwordx2 s[2:3], s[4:5], 0x18
	s_mov_b32 s0, s7
	s_ashr_i32 s7, s6, 31
	s_lshl_b64 s[10:11], s[6:7], 2
	s_mov_b32 s7, s0
	s_waitcnt lgkmcnt(0)
	s_add_u32 s0, s2, s10
	s_addc_u32 s1, s3, s11
	s_load_dwordx2 s[2:3], s[0:1], 0x0
	s_waitcnt lgkmcnt(0)
	s_sub_i32 s24, s2, s20
	s_sub_i32 s21, s3, s20
.LBB13_7:
	s_load_dwordx2 s[10:11], s[4:5], 0x50
	v_lshl_add_u32 v6, s7, 4, v1
	v_mov_b32_e32 v8, 0
	v_ashrrev_i32_e32 v7, 31, v6
	v_cmp_gt_i32_e64 s[0:1], s18, v6
	v_mov_b32_e32 v9, 0
	s_cmp_ge_i32 s24, s21
	v_cmp_eq_u32_e64 s[2:3], 0, v0
	s_cbranch_scc1 .LBB13_17
; %bb.8:
	s_load_dwordx4 s[12:15], s[4:5], 0x20
	s_load_dwordx2 s[28:29], s[4:5], 0x38
	v_mul_lo_u32 v15, s9, v6
	v_mul_lo_u32 v16, s8, v7
	v_mad_u64_u32 v[10:11], s[30:31], s8, v6, 0
	v_cmp_gt_u32_e32 vcc, 3, v0
	v_lshlrev_b64 v[8:9], 3, v[6:7]
	s_and_b64 s[18:19], s[0:1], vcc
	v_cmp_gt_u32_e32 vcc, 3, v1
	s_and_b64 s[26:27], s[2:3], vcc
	s_waitcnt lgkmcnt(0)
	v_mov_b32_e32 v12, s29
	v_add_co_u32_e32 v13, vcc, s28, v8
	v_add3_u32 v11, v11, v16, v15
	v_addc_co_u32_e32 v14, vcc, v12, v9, vcc
	v_lshlrev_b64 v[8:9], 3, v[10:11]
	v_mov_b32_e32 v10, s29
	v_add_co_u32_e32 v8, vcc, s28, v8
	s_cmpk_lg_i32 s16, 0x6f
	v_addc_co_u32_e32 v9, vcc, v10, v9, vcc
	v_lshlrev_b32_e32 v10, 3, v0
	s_cselect_b64 s[16:17], -1, 0
	v_add_co_u32_e32 v16, vcc, v8, v10
	v_add_u32_e32 v19, 0x180, v10
	s_ashr_i32 s25, s24, 31
	v_mad_u64_u32 v[10:11], s[30:31], s24, 3, v[1:2]
	v_mul_u32_u24_e32 v12, 3, v1
	s_lshl_b64 s[28:29], s[24:25], 2
	v_add_lshl_u32 v15, v12, v0, 3
	v_addc_co_u32_e32 v17, vcc, 0, v9, vcc
	s_add_u32 s12, s12, s28
	v_mov_b32_e32 v8, 0
	v_add_u32_e32 v18, 0x180, v15
	v_lshlrev_b32_e32 v20, 3, v12
	v_mov_b32_e32 v9, 0
	s_addc_u32 s13, s13, s29
	s_branch .LBB13_10
.LBB13_9:                               ;   in Loop: Header=BB13_10 Depth=1
	s_or_b64 exec, exec, s[28:29]
	s_waitcnt lgkmcnt(0)
	; wave barrier
	ds_read2_b64 v[21:24], v19 offset1:3
	ds_read2_b64 v[25:28], v20 offset1:1
	ds_read_b64 v[11:12], v19 offset:48
	s_add_i32 s24, s24, 1
	s_add_u32 s12, s12, 4
	s_addc_u32 s13, s13, 0
	s_waitcnt lgkmcnt(1)
	v_fma_f64 v[8:9], v[21:22], v[25:26], v[8:9]
	ds_read_b64 v[21:22], v20 offset:16
	s_cmp_ge_i32 s24, s21
	v_add_u32_e32 v10, 3, v10
	s_waitcnt lgkmcnt(0)
	; wave barrier
	v_fma_f64 v[8:9], v[23:24], v[27:28], v[8:9]
	v_fma_f64 v[8:9], v[11:12], v[21:22], v[8:9]
	s_cbranch_scc1 .LBB13_17
.LBB13_10:                              ; =>This Inner Loop Header: Depth=1
	v_mov_b32_e32 v11, 0
	v_mov_b32_e32 v12, 0
	s_and_saveexec_b64 s[28:29], s[18:19]
	s_cbranch_execz .LBB13_15
; %bb.11:                               ;   in Loop: Header=BB13_10 Depth=1
	s_load_dword s7, s[12:13], 0x0
	s_mov_b64 s[34:35], -1
	s_and_b64 vcc, exec, s[16:17]
                                        ; implicit-def: $vgpr11_vgpr12
	s_waitcnt lgkmcnt(0)
	s_sub_i32 s7, s7, s20
	s_mul_i32 s30, s7, 3
	s_cbranch_vccz .LBB13_13
; %bb.12:                               ;   in Loop: Header=BB13_10 Depth=1
	v_add_u32_e32 v1, s30, v0
	v_ashrrev_i32_e32 v21, 31, v1
	v_mul_lo_u32 v22, s9, v1
	v_mad_u64_u32 v[11:12], s[34:35], s8, v1, 0
	v_mul_lo_u32 v1, s8, v21
	s_mov_b64 s[34:35], 0
	v_add3_u32 v12, v12, v1, v22
	v_lshlrev_b64 v[11:12], 3, v[11:12]
	v_add_co_u32_e32 v11, vcc, v13, v11
	v_addc_co_u32_e32 v12, vcc, v14, v12, vcc
	global_load_dwordx2 v[11:12], v[11:12], off
.LBB13_13:                              ;   in Loop: Header=BB13_10 Depth=1
	s_andn2_b64 vcc, exec, s[34:35]
	s_cbranch_vccnz .LBB13_15
; %bb.14:                               ;   in Loop: Header=BB13_10 Depth=1
	s_ashr_i32 s31, s30, 31
	s_lshl_b64 s[30:31], s[30:31], 3
	v_mov_b32_e32 v1, s31
	s_waitcnt vmcnt(0)
	v_add_co_u32_e32 v11, vcc, s30, v16
	v_addc_co_u32_e32 v12, vcc, v17, v1, vcc
	global_load_dwordx2 v[11:12], v[11:12], off
.LBB13_15:                              ;   in Loop: Header=BB13_10 Depth=1
	s_or_b64 exec, exec, s[28:29]
	s_waitcnt vmcnt(0)
	ds_write_b64 v15, v[11:12]
	s_and_saveexec_b64 s[28:29], s[26:27]
	s_cbranch_execz .LBB13_9
; %bb.16:                               ;   in Loop: Header=BB13_10 Depth=1
	v_ashrrev_i32_e32 v11, 31, v10
	v_lshlrev_b64 v[11:12], 3, v[10:11]
	v_mov_b32_e32 v1, s15
	v_add_co_u32_e32 v11, vcc, s14, v11
	v_addc_co_u32_e32 v12, vcc, v1, v12, vcc
	global_load_dwordx2 v[11:12], v[11:12], off
	s_waitcnt vmcnt(0)
	ds_write_b64 v18, v[11:12]
	s_branch .LBB13_9
.LBB13_17:
	s_and_b64 s[0:1], s[2:3], s[0:1]
	s_and_b64 s[0:1], s[22:23], s[0:1]
	s_and_b64 exec, exec, s[0:1]
	s_cbranch_execz .LBB13_22
; %bb.18:
	s_load_dwordx2 s[0:1], s[4:5], 0x58
	v_cmp_neq_f64_e32 vcc, 0, v[2:3]
	v_mul_f64 v[4:5], v[4:5], v[8:9]
	v_add_u32_e32 v0, s6, v0
	s_waitcnt lgkmcnt(0)
	v_mul_lo_u32 v1, s1, v6
	v_mul_lo_u32 v8, s0, v7
	v_mad_u64_u32 v[6:7], s[0:1], s0, v6, 0
	v_add3_u32 v7, v7, v8, v1
	v_lshlrev_b64 v[6:7], 3, v[6:7]
	v_ashrrev_i32_e32 v1, 31, v0
	s_and_saveexec_b64 s[0:1], vcc
	s_xor_b64 s[0:1], exec, s[0:1]
	s_cbranch_execz .LBB13_20
; %bb.19:
	v_mov_b32_e32 v8, s11
	v_add_co_u32_e32 v6, vcc, s10, v6
	v_lshlrev_b64 v[0:1], 3, v[0:1]
	v_addc_co_u32_e32 v7, vcc, v8, v7, vcc
	v_add_co_u32_e32 v0, vcc, v6, v0
	v_addc_co_u32_e32 v1, vcc, v7, v1, vcc
	global_load_dwordx2 v[6:7], v[0:1], off
	s_waitcnt vmcnt(0)
	v_fma_f64 v[2:3], v[2:3], v[6:7], v[4:5]
                                        ; implicit-def: $vgpr6_vgpr7
                                        ; implicit-def: $vgpr4_vgpr5
	global_store_dwordx2 v[0:1], v[2:3], off
                                        ; implicit-def: $vgpr0
.LBB13_20:
	s_andn2_saveexec_b64 s[0:1], s[0:1]
	s_cbranch_execz .LBB13_22
; %bb.21:
	v_mov_b32_e32 v2, s11
	v_add_co_u32_e32 v3, vcc, s10, v6
	v_lshlrev_b64 v[0:1], 3, v[0:1]
	v_addc_co_u32_e32 v2, vcc, v2, v7, vcc
	v_add_co_u32_e32 v0, vcc, v3, v0
	v_addc_co_u32_e32 v1, vcc, v2, v1, vcc
	global_store_dwordx2 v[0:1], v[4:5], off
.LBB13_22:
	s_endpgm
	.section	.rodata,"a",@progbits
	.p2align	6, 0x0
	.amdhsa_kernel _ZN9rocsparseL29gebsrmm_small_blockdim_kernelILi1ELi3ELi3ELi16EdEEv20rocsparse_direction_20rocsparse_operation_iiNS_24const_host_device_scalarIT3_EEPKiS7_PKS4_iiS9_lS5_PS4_l21rocsparse_index_base_b
		.amdhsa_group_segment_fixed_size 456
		.amdhsa_private_segment_fixed_size 0
		.amdhsa_kernarg_size 104
		.amdhsa_user_sgpr_count 6
		.amdhsa_user_sgpr_private_segment_buffer 1
		.amdhsa_user_sgpr_dispatch_ptr 0
		.amdhsa_user_sgpr_queue_ptr 0
		.amdhsa_user_sgpr_kernarg_segment_ptr 1
		.amdhsa_user_sgpr_dispatch_id 0
		.amdhsa_user_sgpr_flat_scratch_init 0
		.amdhsa_user_sgpr_private_segment_size 0
		.amdhsa_uses_dynamic_stack 0
		.amdhsa_system_sgpr_private_segment_wavefront_offset 0
		.amdhsa_system_sgpr_workgroup_id_x 1
		.amdhsa_system_sgpr_workgroup_id_y 1
		.amdhsa_system_sgpr_workgroup_id_z 0
		.amdhsa_system_sgpr_workgroup_info 0
		.amdhsa_system_vgpr_workitem_id 1
		.amdhsa_next_free_vgpr 29
		.amdhsa_next_free_sgpr 36
		.amdhsa_reserve_vcc 1
		.amdhsa_reserve_flat_scratch 0
		.amdhsa_float_round_mode_32 0
		.amdhsa_float_round_mode_16_64 0
		.amdhsa_float_denorm_mode_32 3
		.amdhsa_float_denorm_mode_16_64 3
		.amdhsa_dx10_clamp 1
		.amdhsa_ieee_mode 1
		.amdhsa_fp16_overflow 0
		.amdhsa_exception_fp_ieee_invalid_op 0
		.amdhsa_exception_fp_denorm_src 0
		.amdhsa_exception_fp_ieee_div_zero 0
		.amdhsa_exception_fp_ieee_overflow 0
		.amdhsa_exception_fp_ieee_underflow 0
		.amdhsa_exception_fp_ieee_inexact 0
		.amdhsa_exception_int_div_zero 0
	.end_amdhsa_kernel
	.section	.text._ZN9rocsparseL29gebsrmm_small_blockdim_kernelILi1ELi3ELi3ELi16EdEEv20rocsparse_direction_20rocsparse_operation_iiNS_24const_host_device_scalarIT3_EEPKiS7_PKS4_iiS9_lS5_PS4_l21rocsparse_index_base_b,"axG",@progbits,_ZN9rocsparseL29gebsrmm_small_blockdim_kernelILi1ELi3ELi3ELi16EdEEv20rocsparse_direction_20rocsparse_operation_iiNS_24const_host_device_scalarIT3_EEPKiS7_PKS4_iiS9_lS5_PS4_l21rocsparse_index_base_b,comdat
.Lfunc_end13:
	.size	_ZN9rocsparseL29gebsrmm_small_blockdim_kernelILi1ELi3ELi3ELi16EdEEv20rocsparse_direction_20rocsparse_operation_iiNS_24const_host_device_scalarIT3_EEPKiS7_PKS4_iiS9_lS5_PS4_l21rocsparse_index_base_b, .Lfunc_end13-_ZN9rocsparseL29gebsrmm_small_blockdim_kernelILi1ELi3ELi3ELi16EdEEv20rocsparse_direction_20rocsparse_operation_iiNS_24const_host_device_scalarIT3_EEPKiS7_PKS4_iiS9_lS5_PS4_l21rocsparse_index_base_b
                                        ; -- End function
	.set _ZN9rocsparseL29gebsrmm_small_blockdim_kernelILi1ELi3ELi3ELi16EdEEv20rocsparse_direction_20rocsparse_operation_iiNS_24const_host_device_scalarIT3_EEPKiS7_PKS4_iiS9_lS5_PS4_l21rocsparse_index_base_b.num_vgpr, 29
	.set _ZN9rocsparseL29gebsrmm_small_blockdim_kernelILi1ELi3ELi3ELi16EdEEv20rocsparse_direction_20rocsparse_operation_iiNS_24const_host_device_scalarIT3_EEPKiS7_PKS4_iiS9_lS5_PS4_l21rocsparse_index_base_b.num_agpr, 0
	.set _ZN9rocsparseL29gebsrmm_small_blockdim_kernelILi1ELi3ELi3ELi16EdEEv20rocsparse_direction_20rocsparse_operation_iiNS_24const_host_device_scalarIT3_EEPKiS7_PKS4_iiS9_lS5_PS4_l21rocsparse_index_base_b.numbered_sgpr, 36
	.set _ZN9rocsparseL29gebsrmm_small_blockdim_kernelILi1ELi3ELi3ELi16EdEEv20rocsparse_direction_20rocsparse_operation_iiNS_24const_host_device_scalarIT3_EEPKiS7_PKS4_iiS9_lS5_PS4_l21rocsparse_index_base_b.num_named_barrier, 0
	.set _ZN9rocsparseL29gebsrmm_small_blockdim_kernelILi1ELi3ELi3ELi16EdEEv20rocsparse_direction_20rocsparse_operation_iiNS_24const_host_device_scalarIT3_EEPKiS7_PKS4_iiS9_lS5_PS4_l21rocsparse_index_base_b.private_seg_size, 0
	.set _ZN9rocsparseL29gebsrmm_small_blockdim_kernelILi1ELi3ELi3ELi16EdEEv20rocsparse_direction_20rocsparse_operation_iiNS_24const_host_device_scalarIT3_EEPKiS7_PKS4_iiS9_lS5_PS4_l21rocsparse_index_base_b.uses_vcc, 1
	.set _ZN9rocsparseL29gebsrmm_small_blockdim_kernelILi1ELi3ELi3ELi16EdEEv20rocsparse_direction_20rocsparse_operation_iiNS_24const_host_device_scalarIT3_EEPKiS7_PKS4_iiS9_lS5_PS4_l21rocsparse_index_base_b.uses_flat_scratch, 0
	.set _ZN9rocsparseL29gebsrmm_small_blockdim_kernelILi1ELi3ELi3ELi16EdEEv20rocsparse_direction_20rocsparse_operation_iiNS_24const_host_device_scalarIT3_EEPKiS7_PKS4_iiS9_lS5_PS4_l21rocsparse_index_base_b.has_dyn_sized_stack, 0
	.set _ZN9rocsparseL29gebsrmm_small_blockdim_kernelILi1ELi3ELi3ELi16EdEEv20rocsparse_direction_20rocsparse_operation_iiNS_24const_host_device_scalarIT3_EEPKiS7_PKS4_iiS9_lS5_PS4_l21rocsparse_index_base_b.has_recursion, 0
	.set _ZN9rocsparseL29gebsrmm_small_blockdim_kernelILi1ELi3ELi3ELi16EdEEv20rocsparse_direction_20rocsparse_operation_iiNS_24const_host_device_scalarIT3_EEPKiS7_PKS4_iiS9_lS5_PS4_l21rocsparse_index_base_b.has_indirect_call, 0
	.section	.AMDGPU.csdata,"",@progbits
; Kernel info:
; codeLenInByte = 1000
; TotalNumSgprs: 40
; NumVgprs: 29
; ScratchSize: 0
; MemoryBound: 0
; FloatMode: 240
; IeeeMode: 1
; LDSByteSize: 456 bytes/workgroup (compile time only)
; SGPRBlocks: 4
; VGPRBlocks: 7
; NumSGPRsForWavesPerEU: 40
; NumVGPRsForWavesPerEU: 29
; Occupancy: 8
; WaveLimiterHint : 1
; COMPUTE_PGM_RSRC2:SCRATCH_EN: 0
; COMPUTE_PGM_RSRC2:USER_SGPR: 6
; COMPUTE_PGM_RSRC2:TRAP_HANDLER: 0
; COMPUTE_PGM_RSRC2:TGID_X_EN: 1
; COMPUTE_PGM_RSRC2:TGID_Y_EN: 1
; COMPUTE_PGM_RSRC2:TGID_Z_EN: 0
; COMPUTE_PGM_RSRC2:TIDIG_COMP_CNT: 1
	.section	.text._ZN9rocsparseL29gebsrmm_small_blockdim_kernelILi1ELi4ELi4ELi16EdEEv20rocsparse_direction_20rocsparse_operation_iiNS_24const_host_device_scalarIT3_EEPKiS7_PKS4_iiS9_lS5_PS4_l21rocsparse_index_base_b,"axG",@progbits,_ZN9rocsparseL29gebsrmm_small_blockdim_kernelILi1ELi4ELi4ELi16EdEEv20rocsparse_direction_20rocsparse_operation_iiNS_24const_host_device_scalarIT3_EEPKiS7_PKS4_iiS9_lS5_PS4_l21rocsparse_index_base_b,comdat
	.globl	_ZN9rocsparseL29gebsrmm_small_blockdim_kernelILi1ELi4ELi4ELi16EdEEv20rocsparse_direction_20rocsparse_operation_iiNS_24const_host_device_scalarIT3_EEPKiS7_PKS4_iiS9_lS5_PS4_l21rocsparse_index_base_b ; -- Begin function _ZN9rocsparseL29gebsrmm_small_blockdim_kernelILi1ELi4ELi4ELi16EdEEv20rocsparse_direction_20rocsparse_operation_iiNS_24const_host_device_scalarIT3_EEPKiS7_PKS4_iiS9_lS5_PS4_l21rocsparse_index_base_b
	.p2align	8
	.type	_ZN9rocsparseL29gebsrmm_small_blockdim_kernelILi1ELi4ELi4ELi16EdEEv20rocsparse_direction_20rocsparse_operation_iiNS_24const_host_device_scalarIT3_EEPKiS7_PKS4_iiS9_lS5_PS4_l21rocsparse_index_base_b,@function
_ZN9rocsparseL29gebsrmm_small_blockdim_kernelILi1ELi4ELi4ELi16EdEEv20rocsparse_direction_20rocsparse_operation_iiNS_24const_host_device_scalarIT3_EEPKiS7_PKS4_iiS9_lS5_PS4_l21rocsparse_index_base_b: ; @_ZN9rocsparseL29gebsrmm_small_blockdim_kernelILi1ELi4ELi4ELi16EdEEv20rocsparse_direction_20rocsparse_operation_iiNS_24const_host_device_scalarIT3_EEPKiS7_PKS4_iiS9_lS5_PS4_l21rocsparse_index_base_b
; %bb.0:
	s_load_dwordx2 s[20:21], s[4:5], 0x60
	s_load_dwordx2 s[2:3], s[4:5], 0x10
	s_load_dwordx4 s[8:11], s[4:5], 0x40
	s_waitcnt lgkmcnt(0)
	s_bitcmp1_b32 s21, 0
	s_cselect_b64 s[12:13], -1, 0
	v_mov_b32_e32 v5, s3
	s_xor_b64 s[0:1], s[12:13], -1
	s_and_b64 vcc, exec, s[12:13]
	v_mov_b32_e32 v4, s2
	s_cbranch_vccnz .LBB14_2
; %bb.1:
	v_mov_b32_e32 v2, s2
	v_mov_b32_e32 v3, s3
	flat_load_dwordx2 v[4:5], v[2:3]
.LBB14_2:
	v_mov_b32_e32 v2, s10
	s_andn2_b64 vcc, exec, s[0:1]
	v_mov_b32_e32 v3, s11
	s_cbranch_vccnz .LBB14_4
; %bb.3:
	v_mov_b32_e32 v2, s10
	v_mov_b32_e32 v3, s11
	flat_load_dwordx2 v[2:3], v[2:3]
.LBB14_4:
	s_waitcnt vmcnt(0) lgkmcnt(0)
	v_cmp_neq_f64_e32 vcc, 0, v[4:5]
	v_cmp_neq_f64_e64 s[0:1], 1.0, v[2:3]
	s_or_b64 s[0:1], vcc, s[0:1]
	s_and_saveexec_b64 s[2:3], s[0:1]
	s_cbranch_execz .LBB14_22
; %bb.5:
	s_load_dwordx4 s[16:19], s[4:5], 0x4
	s_mov_b32 s21, 0
	s_mov_b32 s24, 0
	s_waitcnt lgkmcnt(0)
	s_cmp_lt_i32 s6, s17
	s_cselect_b64 s[22:23], -1, 0
	s_cmp_ge_i32 s6, s17
	s_cbranch_scc1 .LBB14_7
; %bb.6:
	s_load_dwordx2 s[2:3], s[4:5], 0x18
	s_mov_b32 s0, s7
	s_ashr_i32 s7, s6, 31
	s_lshl_b64 s[10:11], s[6:7], 2
	s_mov_b32 s7, s0
	s_waitcnt lgkmcnt(0)
	s_add_u32 s0, s2, s10
	s_addc_u32 s1, s3, s11
	s_load_dwordx2 s[2:3], s[0:1], 0x0
	s_waitcnt lgkmcnt(0)
	s_sub_i32 s24, s2, s20
	s_sub_i32 s21, s3, s20
.LBB14_7:
	s_load_dwordx2 s[10:11], s[4:5], 0x50
	v_lshl_add_u32 v6, s7, 4, v1
	v_mov_b32_e32 v8, 0
	v_ashrrev_i32_e32 v7, 31, v6
	v_cmp_gt_i32_e64 s[0:1], s18, v6
	v_mov_b32_e32 v9, 0
	s_cmp_ge_i32 s24, s21
	v_cmp_eq_u32_e64 s[2:3], 0, v0
	s_cbranch_scc1 .LBB14_17
; %bb.8:
	s_load_dwordx4 s[12:15], s[4:5], 0x20
	s_load_dwordx2 s[28:29], s[4:5], 0x38
	v_mul_lo_u32 v15, s9, v6
	v_mul_lo_u32 v16, s8, v7
	v_mad_u64_u32 v[10:11], s[30:31], s8, v6, 0
	v_cmp_gt_u32_e32 vcc, 4, v0
	v_lshlrev_b64 v[8:9], 3, v[6:7]
	s_and_b64 s[18:19], s[0:1], vcc
	v_cmp_gt_u32_e32 vcc, 4, v1
	s_and_b64 s[26:27], s[2:3], vcc
	s_waitcnt lgkmcnt(0)
	v_mov_b32_e32 v12, s29
	v_add_co_u32_e32 v13, vcc, s28, v8
	v_add3_u32 v11, v11, v16, v15
	v_lshlrev_b32_e32 v8, 2, v1
	v_addc_co_u32_e32 v14, vcc, v12, v9, vcc
	v_add_lshl_u32 v15, v8, v0, 3
	v_lshlrev_b64 v[8:9], 3, v[10:11]
	s_cmpk_lg_i32 s16, 0x6f
	v_mov_b32_e32 v10, s29
	v_add_co_u32_e32 v8, vcc, s28, v8
	s_cselect_b64 s[16:17], -1, 0
	v_addc_co_u32_e32 v9, vcc, v10, v9, vcc
	v_lshlrev_b32_e32 v10, 3, v0
	s_ashr_i32 s25, s24, 31
	v_add_co_u32_e32 v16, vcc, v8, v10
	s_lshl_b64 s[28:29], s[24:25], 2
	v_addc_co_u32_e32 v17, vcc, 0, v9, vcc
	s_add_u32 s12, s12, s28
	v_mov_b32_e32 v8, 0
	v_add_u32_e32 v18, 0x200, v15
	v_add_u32_e32 v19, 0x200, v10
	v_lshlrev_b32_e32 v20, 5, v1
	s_addc_u32 s13, s13, s29
	v_mov_b32_e32 v9, 0
	v_lshl_add_u32 v10, s24, 2, v1
	s_branch .LBB14_10
.LBB14_9:                               ;   in Loop: Header=BB14_10 Depth=1
	s_or_b64 exec, exec, s[28:29]
	s_waitcnt lgkmcnt(0)
	; wave barrier
	ds_read2_b64 v[21:24], v19 offset1:4
	ds_read_b128 v[25:28], v20
	ds_read_b128 v[29:32], v20 offset:16
	s_add_i32 s24, s24, 1
	s_add_u32 s12, s12, 4
	s_addc_u32 s13, s13, 0
	s_waitcnt lgkmcnt(1)
	v_fma_f64 v[8:9], v[21:22], v[25:26], v[8:9]
	s_cmp_ge_i32 s24, s21
	v_add_u32_e32 v10, 4, v10
	v_fma_f64 v[8:9], v[23:24], v[27:28], v[8:9]
	ds_read2_b64 v[21:24], v19 offset0:8 offset1:12
	s_waitcnt lgkmcnt(0)
	; wave barrier
	v_fma_f64 v[8:9], v[21:22], v[29:30], v[8:9]
	v_fma_f64 v[8:9], v[23:24], v[31:32], v[8:9]
	s_cbranch_scc1 .LBB14_17
.LBB14_10:                              ; =>This Inner Loop Header: Depth=1
	v_mov_b32_e32 v11, 0
	v_mov_b32_e32 v12, 0
	s_and_saveexec_b64 s[28:29], s[18:19]
	s_cbranch_execz .LBB14_15
; %bb.11:                               ;   in Loop: Header=BB14_10 Depth=1
	s_load_dword s7, s[12:13], 0x0
	s_mov_b64 s[34:35], -1
	s_and_b64 vcc, exec, s[16:17]
                                        ; implicit-def: $vgpr11_vgpr12
	s_waitcnt lgkmcnt(0)
	s_sub_i32 s7, s7, s20
	s_lshl_b32 s30, s7, 2
	s_cbranch_vccz .LBB14_13
; %bb.12:                               ;   in Loop: Header=BB14_10 Depth=1
	v_or_b32_e32 v1, s30, v0
	v_mul_lo_u32 v21, s9, v1
	v_mad_u64_u32 v[11:12], s[34:35], s8, v1, 0
	s_ashr_i32 s7, s30, 31
	s_mul_i32 s7, s8, s7
	v_add3_u32 v12, v12, s7, v21
	v_lshlrev_b64 v[11:12], 3, v[11:12]
	s_mov_b64 s[34:35], 0
	v_add_co_u32_e32 v11, vcc, v13, v11
	v_addc_co_u32_e32 v12, vcc, v14, v12, vcc
	global_load_dwordx2 v[11:12], v[11:12], off
.LBB14_13:                              ;   in Loop: Header=BB14_10 Depth=1
	s_andn2_b64 vcc, exec, s[34:35]
	s_cbranch_vccnz .LBB14_15
; %bb.14:                               ;   in Loop: Header=BB14_10 Depth=1
	s_ashr_i32 s31, s30, 31
	s_lshl_b64 s[30:31], s[30:31], 3
	v_mov_b32_e32 v1, s31
	s_waitcnt vmcnt(0)
	v_add_co_u32_e32 v11, vcc, s30, v16
	v_addc_co_u32_e32 v12, vcc, v17, v1, vcc
	global_load_dwordx2 v[11:12], v[11:12], off
.LBB14_15:                              ;   in Loop: Header=BB14_10 Depth=1
	s_or_b64 exec, exec, s[28:29]
	s_waitcnt vmcnt(0)
	ds_write_b64 v15, v[11:12]
	s_and_saveexec_b64 s[28:29], s[26:27]
	s_cbranch_execz .LBB14_9
; %bb.16:                               ;   in Loop: Header=BB14_10 Depth=1
	v_ashrrev_i32_e32 v11, 31, v10
	v_lshlrev_b64 v[11:12], 3, v[10:11]
	v_mov_b32_e32 v1, s15
	v_add_co_u32_e32 v11, vcc, s14, v11
	v_addc_co_u32_e32 v12, vcc, v1, v12, vcc
	global_load_dwordx2 v[11:12], v[11:12], off
	s_waitcnt vmcnt(0)
	ds_write_b64 v18, v[11:12]
	s_branch .LBB14_9
.LBB14_17:
	s_and_b64 s[0:1], s[2:3], s[0:1]
	s_and_b64 s[0:1], s[22:23], s[0:1]
	s_and_b64 exec, exec, s[0:1]
	s_cbranch_execz .LBB14_22
; %bb.18:
	s_load_dwordx2 s[0:1], s[4:5], 0x58
	v_cmp_neq_f64_e32 vcc, 0, v[2:3]
	v_mul_f64 v[4:5], v[4:5], v[8:9]
	v_add_u32_e32 v0, s6, v0
	s_waitcnt lgkmcnt(0)
	v_mul_lo_u32 v1, s1, v6
	v_mul_lo_u32 v8, s0, v7
	v_mad_u64_u32 v[6:7], s[0:1], s0, v6, 0
	v_add3_u32 v7, v7, v8, v1
	v_lshlrev_b64 v[6:7], 3, v[6:7]
	v_ashrrev_i32_e32 v1, 31, v0
	s_and_saveexec_b64 s[0:1], vcc
	s_xor_b64 s[0:1], exec, s[0:1]
	s_cbranch_execz .LBB14_20
; %bb.19:
	v_mov_b32_e32 v8, s11
	v_add_co_u32_e32 v6, vcc, s10, v6
	v_lshlrev_b64 v[0:1], 3, v[0:1]
	v_addc_co_u32_e32 v7, vcc, v8, v7, vcc
	v_add_co_u32_e32 v0, vcc, v6, v0
	v_addc_co_u32_e32 v1, vcc, v7, v1, vcc
	global_load_dwordx2 v[6:7], v[0:1], off
	s_waitcnt vmcnt(0)
	v_fma_f64 v[2:3], v[2:3], v[6:7], v[4:5]
                                        ; implicit-def: $vgpr6_vgpr7
                                        ; implicit-def: $vgpr4_vgpr5
	global_store_dwordx2 v[0:1], v[2:3], off
                                        ; implicit-def: $vgpr0
.LBB14_20:
	s_andn2_saveexec_b64 s[0:1], s[0:1]
	s_cbranch_execz .LBB14_22
; %bb.21:
	v_mov_b32_e32 v2, s11
	v_add_co_u32_e32 v3, vcc, s10, v6
	v_lshlrev_b64 v[0:1], 3, v[0:1]
	v_addc_co_u32_e32 v2, vcc, v2, v7, vcc
	v_add_co_u32_e32 v0, vcc, v3, v0
	v_addc_co_u32_e32 v1, vcc, v2, v1, vcc
	global_store_dwordx2 v[0:1], v[4:5], off
.LBB14_22:
	s_endpgm
	.section	.rodata,"a",@progbits
	.p2align	6, 0x0
	.amdhsa_kernel _ZN9rocsparseL29gebsrmm_small_blockdim_kernelILi1ELi4ELi4ELi16EdEEv20rocsparse_direction_20rocsparse_operation_iiNS_24const_host_device_scalarIT3_EEPKiS7_PKS4_iiS9_lS5_PS4_l21rocsparse_index_base_b
		.amdhsa_group_segment_fixed_size 640
		.amdhsa_private_segment_fixed_size 0
		.amdhsa_kernarg_size 104
		.amdhsa_user_sgpr_count 6
		.amdhsa_user_sgpr_private_segment_buffer 1
		.amdhsa_user_sgpr_dispatch_ptr 0
		.amdhsa_user_sgpr_queue_ptr 0
		.amdhsa_user_sgpr_kernarg_segment_ptr 1
		.amdhsa_user_sgpr_dispatch_id 0
		.amdhsa_user_sgpr_flat_scratch_init 0
		.amdhsa_user_sgpr_private_segment_size 0
		.amdhsa_uses_dynamic_stack 0
		.amdhsa_system_sgpr_private_segment_wavefront_offset 0
		.amdhsa_system_sgpr_workgroup_id_x 1
		.amdhsa_system_sgpr_workgroup_id_y 1
		.amdhsa_system_sgpr_workgroup_id_z 0
		.amdhsa_system_sgpr_workgroup_info 0
		.amdhsa_system_vgpr_workitem_id 1
		.amdhsa_next_free_vgpr 33
		.amdhsa_next_free_sgpr 36
		.amdhsa_reserve_vcc 1
		.amdhsa_reserve_flat_scratch 0
		.amdhsa_float_round_mode_32 0
		.amdhsa_float_round_mode_16_64 0
		.amdhsa_float_denorm_mode_32 3
		.amdhsa_float_denorm_mode_16_64 3
		.amdhsa_dx10_clamp 1
		.amdhsa_ieee_mode 1
		.amdhsa_fp16_overflow 0
		.amdhsa_exception_fp_ieee_invalid_op 0
		.amdhsa_exception_fp_denorm_src 0
		.amdhsa_exception_fp_ieee_div_zero 0
		.amdhsa_exception_fp_ieee_overflow 0
		.amdhsa_exception_fp_ieee_underflow 0
		.amdhsa_exception_fp_ieee_inexact 0
		.amdhsa_exception_int_div_zero 0
	.end_amdhsa_kernel
	.section	.text._ZN9rocsparseL29gebsrmm_small_blockdim_kernelILi1ELi4ELi4ELi16EdEEv20rocsparse_direction_20rocsparse_operation_iiNS_24const_host_device_scalarIT3_EEPKiS7_PKS4_iiS9_lS5_PS4_l21rocsparse_index_base_b,"axG",@progbits,_ZN9rocsparseL29gebsrmm_small_blockdim_kernelILi1ELi4ELi4ELi16EdEEv20rocsparse_direction_20rocsparse_operation_iiNS_24const_host_device_scalarIT3_EEPKiS7_PKS4_iiS9_lS5_PS4_l21rocsparse_index_base_b,comdat
.Lfunc_end14:
	.size	_ZN9rocsparseL29gebsrmm_small_blockdim_kernelILi1ELi4ELi4ELi16EdEEv20rocsparse_direction_20rocsparse_operation_iiNS_24const_host_device_scalarIT3_EEPKiS7_PKS4_iiS9_lS5_PS4_l21rocsparse_index_base_b, .Lfunc_end14-_ZN9rocsparseL29gebsrmm_small_blockdim_kernelILi1ELi4ELi4ELi16EdEEv20rocsparse_direction_20rocsparse_operation_iiNS_24const_host_device_scalarIT3_EEPKiS7_PKS4_iiS9_lS5_PS4_l21rocsparse_index_base_b
                                        ; -- End function
	.set _ZN9rocsparseL29gebsrmm_small_blockdim_kernelILi1ELi4ELi4ELi16EdEEv20rocsparse_direction_20rocsparse_operation_iiNS_24const_host_device_scalarIT3_EEPKiS7_PKS4_iiS9_lS5_PS4_l21rocsparse_index_base_b.num_vgpr, 33
	.set _ZN9rocsparseL29gebsrmm_small_blockdim_kernelILi1ELi4ELi4ELi16EdEEv20rocsparse_direction_20rocsparse_operation_iiNS_24const_host_device_scalarIT3_EEPKiS7_PKS4_iiS9_lS5_PS4_l21rocsparse_index_base_b.num_agpr, 0
	.set _ZN9rocsparseL29gebsrmm_small_blockdim_kernelILi1ELi4ELi4ELi16EdEEv20rocsparse_direction_20rocsparse_operation_iiNS_24const_host_device_scalarIT3_EEPKiS7_PKS4_iiS9_lS5_PS4_l21rocsparse_index_base_b.numbered_sgpr, 36
	.set _ZN9rocsparseL29gebsrmm_small_blockdim_kernelILi1ELi4ELi4ELi16EdEEv20rocsparse_direction_20rocsparse_operation_iiNS_24const_host_device_scalarIT3_EEPKiS7_PKS4_iiS9_lS5_PS4_l21rocsparse_index_base_b.num_named_barrier, 0
	.set _ZN9rocsparseL29gebsrmm_small_blockdim_kernelILi1ELi4ELi4ELi16EdEEv20rocsparse_direction_20rocsparse_operation_iiNS_24const_host_device_scalarIT3_EEPKiS7_PKS4_iiS9_lS5_PS4_l21rocsparse_index_base_b.private_seg_size, 0
	.set _ZN9rocsparseL29gebsrmm_small_blockdim_kernelILi1ELi4ELi4ELi16EdEEv20rocsparse_direction_20rocsparse_operation_iiNS_24const_host_device_scalarIT3_EEPKiS7_PKS4_iiS9_lS5_PS4_l21rocsparse_index_base_b.uses_vcc, 1
	.set _ZN9rocsparseL29gebsrmm_small_blockdim_kernelILi1ELi4ELi4ELi16EdEEv20rocsparse_direction_20rocsparse_operation_iiNS_24const_host_device_scalarIT3_EEPKiS7_PKS4_iiS9_lS5_PS4_l21rocsparse_index_base_b.uses_flat_scratch, 0
	.set _ZN9rocsparseL29gebsrmm_small_blockdim_kernelILi1ELi4ELi4ELi16EdEEv20rocsparse_direction_20rocsparse_operation_iiNS_24const_host_device_scalarIT3_EEPKiS7_PKS4_iiS9_lS5_PS4_l21rocsparse_index_base_b.has_dyn_sized_stack, 0
	.set _ZN9rocsparseL29gebsrmm_small_blockdim_kernelILi1ELi4ELi4ELi16EdEEv20rocsparse_direction_20rocsparse_operation_iiNS_24const_host_device_scalarIT3_EEPKiS7_PKS4_iiS9_lS5_PS4_l21rocsparse_index_base_b.has_recursion, 0
	.set _ZN9rocsparseL29gebsrmm_small_blockdim_kernelILi1ELi4ELi4ELi16EdEEv20rocsparse_direction_20rocsparse_operation_iiNS_24const_host_device_scalarIT3_EEPKiS7_PKS4_iiS9_lS5_PS4_l21rocsparse_index_base_b.has_indirect_call, 0
	.section	.AMDGPU.csdata,"",@progbits
; Kernel info:
; codeLenInByte = 1004
; TotalNumSgprs: 40
; NumVgprs: 33
; ScratchSize: 0
; MemoryBound: 0
; FloatMode: 240
; IeeeMode: 1
; LDSByteSize: 640 bytes/workgroup (compile time only)
; SGPRBlocks: 4
; VGPRBlocks: 8
; NumSGPRsForWavesPerEU: 40
; NumVGPRsForWavesPerEU: 33
; Occupancy: 7
; WaveLimiterHint : 1
; COMPUTE_PGM_RSRC2:SCRATCH_EN: 0
; COMPUTE_PGM_RSRC2:USER_SGPR: 6
; COMPUTE_PGM_RSRC2:TRAP_HANDLER: 0
; COMPUTE_PGM_RSRC2:TGID_X_EN: 1
; COMPUTE_PGM_RSRC2:TGID_Y_EN: 1
; COMPUTE_PGM_RSRC2:TGID_Z_EN: 0
; COMPUTE_PGM_RSRC2:TIDIG_COMP_CNT: 1
	.section	.text._ZN9rocsparseL29gebsrmm_small_blockdim_kernelILi2ELi1ELi2ELi16EdEEv20rocsparse_direction_20rocsparse_operation_iiNS_24const_host_device_scalarIT3_EEPKiS7_PKS4_iiS9_lS5_PS4_l21rocsparse_index_base_b,"axG",@progbits,_ZN9rocsparseL29gebsrmm_small_blockdim_kernelILi2ELi1ELi2ELi16EdEEv20rocsparse_direction_20rocsparse_operation_iiNS_24const_host_device_scalarIT3_EEPKiS7_PKS4_iiS9_lS5_PS4_l21rocsparse_index_base_b,comdat
	.globl	_ZN9rocsparseL29gebsrmm_small_blockdim_kernelILi2ELi1ELi2ELi16EdEEv20rocsparse_direction_20rocsparse_operation_iiNS_24const_host_device_scalarIT3_EEPKiS7_PKS4_iiS9_lS5_PS4_l21rocsparse_index_base_b ; -- Begin function _ZN9rocsparseL29gebsrmm_small_blockdim_kernelILi2ELi1ELi2ELi16EdEEv20rocsparse_direction_20rocsparse_operation_iiNS_24const_host_device_scalarIT3_EEPKiS7_PKS4_iiS9_lS5_PS4_l21rocsparse_index_base_b
	.p2align	8
	.type	_ZN9rocsparseL29gebsrmm_small_blockdim_kernelILi2ELi1ELi2ELi16EdEEv20rocsparse_direction_20rocsparse_operation_iiNS_24const_host_device_scalarIT3_EEPKiS7_PKS4_iiS9_lS5_PS4_l21rocsparse_index_base_b,@function
_ZN9rocsparseL29gebsrmm_small_blockdim_kernelILi2ELi1ELi2ELi16EdEEv20rocsparse_direction_20rocsparse_operation_iiNS_24const_host_device_scalarIT3_EEPKiS7_PKS4_iiS9_lS5_PS4_l21rocsparse_index_base_b: ; @_ZN9rocsparseL29gebsrmm_small_blockdim_kernelILi2ELi1ELi2ELi16EdEEv20rocsparse_direction_20rocsparse_operation_iiNS_24const_host_device_scalarIT3_EEPKiS7_PKS4_iiS9_lS5_PS4_l21rocsparse_index_base_b
; %bb.0:
	s_load_dwordx2 s[20:21], s[4:5], 0x60
	s_load_dwordx2 s[2:3], s[4:5], 0x10
	s_load_dwordx4 s[8:11], s[4:5], 0x40
	s_waitcnt lgkmcnt(0)
	s_bitcmp1_b32 s21, 0
	s_cselect_b64 s[12:13], -1, 0
	v_mov_b32_e32 v5, s3
	s_xor_b64 s[0:1], s[12:13], -1
	s_and_b64 vcc, exec, s[12:13]
	v_mov_b32_e32 v4, s2
	s_cbranch_vccnz .LBB15_2
; %bb.1:
	v_mov_b32_e32 v2, s2
	v_mov_b32_e32 v3, s3
	flat_load_dwordx2 v[4:5], v[2:3]
.LBB15_2:
	v_mov_b32_e32 v2, s10
	s_andn2_b64 vcc, exec, s[0:1]
	v_mov_b32_e32 v3, s11
	s_cbranch_vccnz .LBB15_4
; %bb.3:
	v_mov_b32_e32 v2, s10
	v_mov_b32_e32 v3, s11
	flat_load_dwordx2 v[2:3], v[2:3]
.LBB15_4:
	s_waitcnt vmcnt(0) lgkmcnt(0)
	v_cmp_neq_f64_e32 vcc, 0, v[4:5]
	v_cmp_neq_f64_e64 s[0:1], 1.0, v[2:3]
	s_or_b64 s[0:1], vcc, s[0:1]
	s_and_saveexec_b64 s[2:3], s[0:1]
	s_cbranch_execz .LBB15_22
; %bb.5:
	s_load_dwordx4 s[16:19], s[4:5], 0x4
	s_mov_b32 s21, 0
	s_mov_b32 s24, 0
	s_waitcnt lgkmcnt(0)
	s_cmp_lt_i32 s6, s17
	s_cselect_b64 s[22:23], -1, 0
	s_cmp_ge_i32 s6, s17
	s_cbranch_scc1 .LBB15_7
; %bb.6:
	s_load_dwordx2 s[2:3], s[4:5], 0x18
	s_mov_b32 s0, s7
	s_ashr_i32 s7, s6, 31
	s_lshl_b64 s[10:11], s[6:7], 2
	s_mov_b32 s7, s0
	s_waitcnt lgkmcnt(0)
	s_add_u32 s0, s2, s10
	s_addc_u32 s1, s3, s11
	s_load_dwordx2 s[2:3], s[0:1], 0x0
	s_waitcnt lgkmcnt(0)
	s_sub_i32 s24, s2, s20
	s_sub_i32 s21, s3, s20
.LBB15_7:
	s_load_dwordx2 s[10:11], s[4:5], 0x50
	v_lshl_add_u32 v6, s7, 4, v1
	v_mov_b32_e32 v8, 0
	v_ashrrev_i32_e32 v7, 31, v6
	v_cmp_gt_i32_e64 s[0:1], s18, v6
	v_mov_b32_e32 v9, 0
	s_cmp_ge_i32 s24, s21
	v_cmp_gt_u32_e64 s[2:3], 2, v0
	s_cbranch_scc1 .LBB15_17
; %bb.8:
	s_load_dwordx4 s[12:15], s[4:5], 0x20
	s_load_dwordx2 s[28:29], s[4:5], 0x38
	v_mul_lo_u32 v15, s9, v6
	v_mul_lo_u32 v16, s8, v7
	v_mad_u64_u32 v[10:11], s[30:31], s8, v6, 0
	v_cmp_eq_u32_e32 vcc, 0, v0
	v_lshlrev_b64 v[8:9], 3, v[6:7]
	s_and_b64 s[18:19], vcc, s[0:1]
	v_cmp_eq_u32_e32 vcc, 0, v1
	s_and_b64 s[26:27], s[2:3], vcc
	s_waitcnt lgkmcnt(0)
	v_mov_b32_e32 v12, s29
	v_add_co_u32_e32 v13, vcc, s28, v8
	v_add3_u32 v11, v11, v16, v15
	v_lshlrev_b32_e32 v8, 1, v1
	v_addc_co_u32_e32 v14, vcc, v12, v9, vcc
	v_add_lshl_u32 v15, v8, v0, 3
	s_cmpk_lg_i32 s16, 0x6f
	v_lshlrev_b64 v[8:9], 3, v[10:11]
	s_cselect_b64 s[16:17], -1, 0
	s_ashr_i32 s25, s24, 31
	v_mov_b32_e32 v10, s29
	v_add_co_u32_e32 v16, vcc, s28, v8
	v_mov_b32_e32 v8, 0x100
	s_lshl_b64 s[28:29], s[24:25], 2
	v_addc_co_u32_e32 v17, vcc, v10, v9, vcc
	v_lshl_or_b32 v19, v0, 3, v8
	s_add_u32 s12, s12, s28
	v_mov_b32_e32 v8, 0
	v_add_u32_e32 v18, 0x100, v15
	v_lshlrev_b32_e32 v1, 4, v1
	s_addc_u32 s13, s13, s29
	v_mov_b32_e32 v9, 0
	v_lshl_add_u32 v10, s24, 1, v0
	s_branch .LBB15_10
.LBB15_9:                               ;   in Loop: Header=BB15_10 Depth=1
	s_or_b64 exec, exec, s[28:29]
	s_waitcnt lgkmcnt(0)
	; wave barrier
	ds_read_b64 v[11:12], v19
	ds_read_b64 v[20:21], v1
	s_add_i32 s24, s24, 1
	s_add_u32 s12, s12, 4
	s_addc_u32 s13, s13, 0
	s_cmp_ge_i32 s24, s21
	s_waitcnt lgkmcnt(0)
	v_fma_f64 v[8:9], v[11:12], v[20:21], v[8:9]
	v_add_u32_e32 v10, 2, v10
	; wave barrier
	s_cbranch_scc1 .LBB15_17
.LBB15_10:                              ; =>This Inner Loop Header: Depth=1
	v_mov_b32_e32 v11, 0
	v_mov_b32_e32 v12, 0
	s_and_saveexec_b64 s[28:29], s[18:19]
	s_cbranch_execz .LBB15_15
; %bb.11:                               ;   in Loop: Header=BB15_10 Depth=1
	s_load_dword s7, s[12:13], 0x0
	s_mov_b64 s[34:35], -1
	s_and_b64 vcc, exec, s[16:17]
                                        ; implicit-def: $vgpr11_vgpr12
	s_waitcnt lgkmcnt(0)
	s_sub_i32 s30, s7, s20
	s_ashr_i32 s31, s30, 31
	s_cbranch_vccz .LBB15_13
; %bb.12:                               ;   in Loop: Header=BB15_10 Depth=1
	s_mul_i32 s7, s8, s31
	s_mul_hi_u32 s25, s8, s30
	s_add_i32 s7, s25, s7
	s_mul_i32 s25, s9, s30
	s_add_i32 s35, s7, s25
	s_mul_i32 s34, s8, s30
	s_lshl_b64 s[34:35], s[34:35], 3
	v_mov_b32_e32 v12, s35
	v_add_co_u32_e32 v11, vcc, s34, v13
	v_addc_co_u32_e32 v12, vcc, v14, v12, vcc
	global_load_dwordx2 v[11:12], v[11:12], off
	s_mov_b64 s[34:35], 0
.LBB15_13:                              ;   in Loop: Header=BB15_10 Depth=1
	s_andn2_b64 vcc, exec, s[34:35]
	s_cbranch_vccnz .LBB15_15
; %bb.14:                               ;   in Loop: Header=BB15_10 Depth=1
	s_lshl_b64 s[30:31], s[30:31], 3
	s_waitcnt vmcnt(0)
	v_mov_b32_e32 v12, s31
	v_add_co_u32_e32 v11, vcc, s30, v16
	v_addc_co_u32_e32 v12, vcc, v17, v12, vcc
	global_load_dwordx2 v[11:12], v[11:12], off
.LBB15_15:                              ;   in Loop: Header=BB15_10 Depth=1
	s_or_b64 exec, exec, s[28:29]
	s_waitcnt vmcnt(0)
	ds_write_b64 v15, v[11:12]
	s_and_saveexec_b64 s[28:29], s[26:27]
	s_cbranch_execz .LBB15_9
; %bb.16:                               ;   in Loop: Header=BB15_10 Depth=1
	v_ashrrev_i32_e32 v11, 31, v10
	v_lshlrev_b64 v[11:12], 3, v[10:11]
	v_mov_b32_e32 v20, s15
	v_add_co_u32_e32 v11, vcc, s14, v11
	v_addc_co_u32_e32 v12, vcc, v20, v12, vcc
	global_load_dwordx2 v[11:12], v[11:12], off
	s_waitcnt vmcnt(0)
	ds_write_b64 v18, v[11:12]
	s_branch .LBB15_9
.LBB15_17:
	s_and_b64 s[0:1], s[22:23], s[0:1]
	s_and_b64 s[0:1], s[0:1], s[2:3]
	s_and_b64 exec, exec, s[0:1]
	s_cbranch_execz .LBB15_22
; %bb.18:
	s_load_dwordx2 s[0:1], s[4:5], 0x58
	v_cmp_neq_f64_e32 vcc, 0, v[2:3]
	v_mul_f64 v[4:5], v[4:5], v[8:9]
	v_lshl_add_u32 v0, s6, 1, v0
	s_waitcnt lgkmcnt(0)
	v_mul_lo_u32 v1, s1, v6
	v_mul_lo_u32 v8, s0, v7
	v_mad_u64_u32 v[6:7], s[0:1], s0, v6, 0
	v_add3_u32 v7, v7, v8, v1
	v_lshlrev_b64 v[6:7], 3, v[6:7]
	v_ashrrev_i32_e32 v1, 31, v0
	s_and_saveexec_b64 s[0:1], vcc
	s_xor_b64 s[0:1], exec, s[0:1]
	s_cbranch_execz .LBB15_20
; %bb.19:
	v_mov_b32_e32 v8, s11
	v_add_co_u32_e32 v6, vcc, s10, v6
	v_lshlrev_b64 v[0:1], 3, v[0:1]
	v_addc_co_u32_e32 v7, vcc, v8, v7, vcc
	v_add_co_u32_e32 v0, vcc, v6, v0
	v_addc_co_u32_e32 v1, vcc, v7, v1, vcc
	global_load_dwordx2 v[6:7], v[0:1], off
	s_waitcnt vmcnt(0)
	v_fma_f64 v[2:3], v[2:3], v[6:7], v[4:5]
                                        ; implicit-def: $vgpr6_vgpr7
                                        ; implicit-def: $vgpr4_vgpr5
	global_store_dwordx2 v[0:1], v[2:3], off
                                        ; implicit-def: $vgpr0
.LBB15_20:
	s_andn2_saveexec_b64 s[0:1], s[0:1]
	s_cbranch_execz .LBB15_22
; %bb.21:
	v_mov_b32_e32 v2, s11
	v_add_co_u32_e32 v3, vcc, s10, v6
	v_lshlrev_b64 v[0:1], 3, v[0:1]
	v_addc_co_u32_e32 v2, vcc, v2, v7, vcc
	v_add_co_u32_e32 v0, vcc, v3, v0
	v_addc_co_u32_e32 v1, vcc, v2, v1, vcc
	global_store_dwordx2 v[0:1], v[4:5], off
.LBB15_22:
	s_endpgm
	.section	.rodata,"a",@progbits
	.p2align	6, 0x0
	.amdhsa_kernel _ZN9rocsparseL29gebsrmm_small_blockdim_kernelILi2ELi1ELi2ELi16EdEEv20rocsparse_direction_20rocsparse_operation_iiNS_24const_host_device_scalarIT3_EEPKiS7_PKS4_iiS9_lS5_PS4_l21rocsparse_index_base_b
		.amdhsa_group_segment_fixed_size 288
		.amdhsa_private_segment_fixed_size 0
		.amdhsa_kernarg_size 104
		.amdhsa_user_sgpr_count 6
		.amdhsa_user_sgpr_private_segment_buffer 1
		.amdhsa_user_sgpr_dispatch_ptr 0
		.amdhsa_user_sgpr_queue_ptr 0
		.amdhsa_user_sgpr_kernarg_segment_ptr 1
		.amdhsa_user_sgpr_dispatch_id 0
		.amdhsa_user_sgpr_flat_scratch_init 0
		.amdhsa_user_sgpr_private_segment_size 0
		.amdhsa_uses_dynamic_stack 0
		.amdhsa_system_sgpr_private_segment_wavefront_offset 0
		.amdhsa_system_sgpr_workgroup_id_x 1
		.amdhsa_system_sgpr_workgroup_id_y 1
		.amdhsa_system_sgpr_workgroup_id_z 0
		.amdhsa_system_sgpr_workgroup_info 0
		.amdhsa_system_vgpr_workitem_id 1
		.amdhsa_next_free_vgpr 22
		.amdhsa_next_free_sgpr 36
		.amdhsa_reserve_vcc 1
		.amdhsa_reserve_flat_scratch 0
		.amdhsa_float_round_mode_32 0
		.amdhsa_float_round_mode_16_64 0
		.amdhsa_float_denorm_mode_32 3
		.amdhsa_float_denorm_mode_16_64 3
		.amdhsa_dx10_clamp 1
		.amdhsa_ieee_mode 1
		.amdhsa_fp16_overflow 0
		.amdhsa_exception_fp_ieee_invalid_op 0
		.amdhsa_exception_fp_denorm_src 0
		.amdhsa_exception_fp_ieee_div_zero 0
		.amdhsa_exception_fp_ieee_overflow 0
		.amdhsa_exception_fp_ieee_underflow 0
		.amdhsa_exception_fp_ieee_inexact 0
		.amdhsa_exception_int_div_zero 0
	.end_amdhsa_kernel
	.section	.text._ZN9rocsparseL29gebsrmm_small_blockdim_kernelILi2ELi1ELi2ELi16EdEEv20rocsparse_direction_20rocsparse_operation_iiNS_24const_host_device_scalarIT3_EEPKiS7_PKS4_iiS9_lS5_PS4_l21rocsparse_index_base_b,"axG",@progbits,_ZN9rocsparseL29gebsrmm_small_blockdim_kernelILi2ELi1ELi2ELi16EdEEv20rocsparse_direction_20rocsparse_operation_iiNS_24const_host_device_scalarIT3_EEPKiS7_PKS4_iiS9_lS5_PS4_l21rocsparse_index_base_b,comdat
.Lfunc_end15:
	.size	_ZN9rocsparseL29gebsrmm_small_blockdim_kernelILi2ELi1ELi2ELi16EdEEv20rocsparse_direction_20rocsparse_operation_iiNS_24const_host_device_scalarIT3_EEPKiS7_PKS4_iiS9_lS5_PS4_l21rocsparse_index_base_b, .Lfunc_end15-_ZN9rocsparseL29gebsrmm_small_blockdim_kernelILi2ELi1ELi2ELi16EdEEv20rocsparse_direction_20rocsparse_operation_iiNS_24const_host_device_scalarIT3_EEPKiS7_PKS4_iiS9_lS5_PS4_l21rocsparse_index_base_b
                                        ; -- End function
	.set _ZN9rocsparseL29gebsrmm_small_blockdim_kernelILi2ELi1ELi2ELi16EdEEv20rocsparse_direction_20rocsparse_operation_iiNS_24const_host_device_scalarIT3_EEPKiS7_PKS4_iiS9_lS5_PS4_l21rocsparse_index_base_b.num_vgpr, 22
	.set _ZN9rocsparseL29gebsrmm_small_blockdim_kernelILi2ELi1ELi2ELi16EdEEv20rocsparse_direction_20rocsparse_operation_iiNS_24const_host_device_scalarIT3_EEPKiS7_PKS4_iiS9_lS5_PS4_l21rocsparse_index_base_b.num_agpr, 0
	.set _ZN9rocsparseL29gebsrmm_small_blockdim_kernelILi2ELi1ELi2ELi16EdEEv20rocsparse_direction_20rocsparse_operation_iiNS_24const_host_device_scalarIT3_EEPKiS7_PKS4_iiS9_lS5_PS4_l21rocsparse_index_base_b.numbered_sgpr, 36
	.set _ZN9rocsparseL29gebsrmm_small_blockdim_kernelILi2ELi1ELi2ELi16EdEEv20rocsparse_direction_20rocsparse_operation_iiNS_24const_host_device_scalarIT3_EEPKiS7_PKS4_iiS9_lS5_PS4_l21rocsparse_index_base_b.num_named_barrier, 0
	.set _ZN9rocsparseL29gebsrmm_small_blockdim_kernelILi2ELi1ELi2ELi16EdEEv20rocsparse_direction_20rocsparse_operation_iiNS_24const_host_device_scalarIT3_EEPKiS7_PKS4_iiS9_lS5_PS4_l21rocsparse_index_base_b.private_seg_size, 0
	.set _ZN9rocsparseL29gebsrmm_small_blockdim_kernelILi2ELi1ELi2ELi16EdEEv20rocsparse_direction_20rocsparse_operation_iiNS_24const_host_device_scalarIT3_EEPKiS7_PKS4_iiS9_lS5_PS4_l21rocsparse_index_base_b.uses_vcc, 1
	.set _ZN9rocsparseL29gebsrmm_small_blockdim_kernelILi2ELi1ELi2ELi16EdEEv20rocsparse_direction_20rocsparse_operation_iiNS_24const_host_device_scalarIT3_EEPKiS7_PKS4_iiS9_lS5_PS4_l21rocsparse_index_base_b.uses_flat_scratch, 0
	.set _ZN9rocsparseL29gebsrmm_small_blockdim_kernelILi2ELi1ELi2ELi16EdEEv20rocsparse_direction_20rocsparse_operation_iiNS_24const_host_device_scalarIT3_EEPKiS7_PKS4_iiS9_lS5_PS4_l21rocsparse_index_base_b.has_dyn_sized_stack, 0
	.set _ZN9rocsparseL29gebsrmm_small_blockdim_kernelILi2ELi1ELi2ELi16EdEEv20rocsparse_direction_20rocsparse_operation_iiNS_24const_host_device_scalarIT3_EEPKiS7_PKS4_iiS9_lS5_PS4_l21rocsparse_index_base_b.has_recursion, 0
	.set _ZN9rocsparseL29gebsrmm_small_blockdim_kernelILi2ELi1ELi2ELi16EdEEv20rocsparse_direction_20rocsparse_operation_iiNS_24const_host_device_scalarIT3_EEPKiS7_PKS4_iiS9_lS5_PS4_l21rocsparse_index_base_b.has_indirect_call, 0
	.section	.AMDGPU.csdata,"",@progbits
; Kernel info:
; codeLenInByte = 944
; TotalNumSgprs: 40
; NumVgprs: 22
; ScratchSize: 0
; MemoryBound: 0
; FloatMode: 240
; IeeeMode: 1
; LDSByteSize: 288 bytes/workgroup (compile time only)
; SGPRBlocks: 4
; VGPRBlocks: 5
; NumSGPRsForWavesPerEU: 40
; NumVGPRsForWavesPerEU: 22
; Occupancy: 10
; WaveLimiterHint : 1
; COMPUTE_PGM_RSRC2:SCRATCH_EN: 0
; COMPUTE_PGM_RSRC2:USER_SGPR: 6
; COMPUTE_PGM_RSRC2:TRAP_HANDLER: 0
; COMPUTE_PGM_RSRC2:TGID_X_EN: 1
; COMPUTE_PGM_RSRC2:TGID_Y_EN: 1
; COMPUTE_PGM_RSRC2:TGID_Z_EN: 0
; COMPUTE_PGM_RSRC2:TIDIG_COMP_CNT: 1
	.section	.text._ZN9rocsparseL29gebsrmm_small_blockdim_kernelILi2ELi3ELi3ELi16EdEEv20rocsparse_direction_20rocsparse_operation_iiNS_24const_host_device_scalarIT3_EEPKiS7_PKS4_iiS9_lS5_PS4_l21rocsparse_index_base_b,"axG",@progbits,_ZN9rocsparseL29gebsrmm_small_blockdim_kernelILi2ELi3ELi3ELi16EdEEv20rocsparse_direction_20rocsparse_operation_iiNS_24const_host_device_scalarIT3_EEPKiS7_PKS4_iiS9_lS5_PS4_l21rocsparse_index_base_b,comdat
	.globl	_ZN9rocsparseL29gebsrmm_small_blockdim_kernelILi2ELi3ELi3ELi16EdEEv20rocsparse_direction_20rocsparse_operation_iiNS_24const_host_device_scalarIT3_EEPKiS7_PKS4_iiS9_lS5_PS4_l21rocsparse_index_base_b ; -- Begin function _ZN9rocsparseL29gebsrmm_small_blockdim_kernelILi2ELi3ELi3ELi16EdEEv20rocsparse_direction_20rocsparse_operation_iiNS_24const_host_device_scalarIT3_EEPKiS7_PKS4_iiS9_lS5_PS4_l21rocsparse_index_base_b
	.p2align	8
	.type	_ZN9rocsparseL29gebsrmm_small_blockdim_kernelILi2ELi3ELi3ELi16EdEEv20rocsparse_direction_20rocsparse_operation_iiNS_24const_host_device_scalarIT3_EEPKiS7_PKS4_iiS9_lS5_PS4_l21rocsparse_index_base_b,@function
_ZN9rocsparseL29gebsrmm_small_blockdim_kernelILi2ELi3ELi3ELi16EdEEv20rocsparse_direction_20rocsparse_operation_iiNS_24const_host_device_scalarIT3_EEPKiS7_PKS4_iiS9_lS5_PS4_l21rocsparse_index_base_b: ; @_ZN9rocsparseL29gebsrmm_small_blockdim_kernelILi2ELi3ELi3ELi16EdEEv20rocsparse_direction_20rocsparse_operation_iiNS_24const_host_device_scalarIT3_EEPKiS7_PKS4_iiS9_lS5_PS4_l21rocsparse_index_base_b
; %bb.0:
	s_load_dwordx2 s[20:21], s[4:5], 0x60
	s_load_dwordx2 s[2:3], s[4:5], 0x10
	s_load_dwordx4 s[8:11], s[4:5], 0x40
	s_waitcnt lgkmcnt(0)
	s_bitcmp1_b32 s21, 0
	s_cselect_b64 s[12:13], -1, 0
	v_mov_b32_e32 v5, s3
	s_xor_b64 s[0:1], s[12:13], -1
	s_and_b64 vcc, exec, s[12:13]
	v_mov_b32_e32 v4, s2
	s_cbranch_vccnz .LBB16_2
; %bb.1:
	v_mov_b32_e32 v2, s2
	v_mov_b32_e32 v3, s3
	flat_load_dwordx2 v[4:5], v[2:3]
.LBB16_2:
	v_mov_b32_e32 v2, s10
	s_andn2_b64 vcc, exec, s[0:1]
	v_mov_b32_e32 v3, s11
	s_cbranch_vccnz .LBB16_4
; %bb.3:
	v_mov_b32_e32 v2, s10
	v_mov_b32_e32 v3, s11
	flat_load_dwordx2 v[2:3], v[2:3]
.LBB16_4:
	s_waitcnt vmcnt(0) lgkmcnt(0)
	v_cmp_neq_f64_e32 vcc, 0, v[4:5]
	v_cmp_neq_f64_e64 s[0:1], 1.0, v[2:3]
	s_or_b64 s[0:1], vcc, s[0:1]
	s_and_saveexec_b64 s[2:3], s[0:1]
	s_cbranch_execz .LBB16_22
; %bb.5:
	s_load_dwordx4 s[16:19], s[4:5], 0x0
	s_mov_b32 s21, 0
	s_waitcnt lgkmcnt(0)
	s_cmp_lt_i32 s6, s18
	s_cselect_b64 s[22:23], -1, 0
	s_cmp_ge_i32 s6, s18
	s_mov_b32 s18, 0
	s_cbranch_scc1 .LBB16_7
; %bb.6:
	s_load_dwordx2 s[2:3], s[4:5], 0x18
	s_mov_b32 s0, s7
	s_ashr_i32 s7, s6, 31
	s_lshl_b64 s[10:11], s[6:7], 2
	s_mov_b32 s7, s0
	s_waitcnt lgkmcnt(0)
	s_add_u32 s0, s2, s10
	s_addc_u32 s1, s3, s11
	s_load_dwordx2 s[2:3], s[0:1], 0x0
	s_waitcnt lgkmcnt(0)
	s_sub_i32 s18, s2, s20
	s_sub_i32 s21, s3, s20
.LBB16_7:
	s_load_dwordx2 s[10:11], s[4:5], 0x50
	v_lshl_add_u32 v6, s7, 4, v1
	v_mov_b32_e32 v8, 0
	v_ashrrev_i32_e32 v7, 31, v6
	v_cmp_gt_i32_e64 s[0:1], s19, v6
	v_mov_b32_e32 v9, 0
	s_cmp_ge_i32 s18, s21
	v_cmp_gt_u32_e64 s[2:3], 2, v0
	s_cbranch_scc1 .LBB16_17
; %bb.8:
	s_load_dwordx4 s[12:15], s[4:5], 0x20
	s_load_dwordx2 s[30:31], s[4:5], 0x38
	v_mul_lo_u32 v15, s9, v6
	v_mul_lo_u32 v16, s8, v7
	v_mad_u64_u32 v[10:11], s[28:29], s8, v6, 0
	v_cmp_gt_u32_e32 vcc, 3, v0
	v_lshlrev_b64 v[8:9], 3, v[6:7]
	s_and_b64 s[24:25], s[0:1], vcc
	v_cmp_gt_u32_e32 vcc, 3, v1
	s_and_b64 s[26:27], s[2:3], vcc
	s_waitcnt lgkmcnt(0)
	v_mov_b32_e32 v12, s31
	v_add_co_u32_e32 v13, vcc, s30, v8
	v_add3_u32 v11, v11, v16, v15
	v_addc_co_u32_e32 v14, vcc, v12, v9, vcc
	v_lshlrev_b64 v[8:9], 3, v[10:11]
	v_mov_b32_e32 v10, s31
	v_add_co_u32_e32 v8, vcc, s30, v8
	v_addc_co_u32_e32 v9, vcc, v10, v9, vcc
	v_lshlrev_b32_e32 v10, 3, v0
	s_cmpk_lg_i32 s17, 0x6f
	v_add_co_u32_e32 v16, vcc, v8, v10
	v_mad_u32_u24 v18, v1, 3, v0
	s_cselect_b64 s[28:29], -1, 0
	v_addc_co_u32_e32 v17, vcc, 0, v9, vcc
	s_cmp_eq_u32 s16, 0
	v_sub_u32_e32 v8, v18, v1
	v_mad_u32_u24 v9, v0, 3, v1
	s_cselect_b64 vcc, -1, 0
	v_cndmask_b32_e32 v8, v8, v9, vcc
	v_mul_u32_u24_e32 v12, 3, v1
	v_add_u32_e32 v1, 0x180, v10
	s_ashr_i32 s19, s18, 31
	v_mad_u64_u32 v[10:11], s[30:31], s18, 6, v[8:9]
	s_lshl_b64 s[16:17], s[18:19], 2
	v_lshlrev_b32_e32 v15, 3, v18
	s_add_u32 s12, s12, s16
	v_mov_b32_e32 v8, 0
	v_add_u32_e32 v18, 0x180, v15
	v_lshlrev_b32_e32 v19, 3, v12
	v_mov_b32_e32 v9, 0
	s_addc_u32 s13, s13, s17
	s_branch .LBB16_10
.LBB16_9:                               ;   in Loop: Header=BB16_10 Depth=1
	s_or_b64 exec, exec, s[16:17]
	s_waitcnt lgkmcnt(0)
	; wave barrier
	ds_read2_b64 v[20:23], v1 offset1:3
	ds_read2_b64 v[24:27], v19 offset1:1
	ds_read_b64 v[11:12], v1 offset:48
	s_add_i32 s18, s18, 1
	s_add_u32 s12, s12, 4
	s_addc_u32 s13, s13, 0
	s_waitcnt lgkmcnt(1)
	v_fma_f64 v[8:9], v[20:21], v[24:25], v[8:9]
	ds_read_b64 v[20:21], v19 offset:16
	s_cmp_ge_i32 s18, s21
	v_add_u32_e32 v10, 6, v10
	s_waitcnt lgkmcnt(0)
	; wave barrier
	v_fma_f64 v[8:9], v[22:23], v[26:27], v[8:9]
	v_fma_f64 v[8:9], v[11:12], v[20:21], v[8:9]
	s_cbranch_scc1 .LBB16_17
.LBB16_10:                              ; =>This Inner Loop Header: Depth=1
	v_mov_b32_e32 v11, 0
	v_mov_b32_e32 v12, 0
	s_and_saveexec_b64 s[16:17], s[24:25]
	s_cbranch_execz .LBB16_15
; %bb.11:                               ;   in Loop: Header=BB16_10 Depth=1
	s_load_dword s7, s[12:13], 0x0
	s_mov_b64 s[34:35], -1
	s_and_b64 vcc, exec, s[28:29]
                                        ; implicit-def: $vgpr11_vgpr12
	s_waitcnt lgkmcnt(0)
	s_sub_i32 s7, s7, s20
	s_mul_i32 s30, s7, 3
	s_cbranch_vccz .LBB16_13
; %bb.12:                               ;   in Loop: Header=BB16_10 Depth=1
	v_add_u32_e32 v11, s30, v0
	v_ashrrev_i32_e32 v20, 31, v11
	v_mul_lo_u32 v21, s9, v11
	v_mad_u64_u32 v[11:12], s[34:35], s8, v11, 0
	v_mul_lo_u32 v20, s8, v20
	s_mov_b64 s[34:35], 0
	v_add3_u32 v12, v12, v20, v21
	v_lshlrev_b64 v[11:12], 3, v[11:12]
	v_add_co_u32_e32 v11, vcc, v13, v11
	v_addc_co_u32_e32 v12, vcc, v14, v12, vcc
	global_load_dwordx2 v[11:12], v[11:12], off
.LBB16_13:                              ;   in Loop: Header=BB16_10 Depth=1
	s_andn2_b64 vcc, exec, s[34:35]
	s_cbranch_vccnz .LBB16_15
; %bb.14:                               ;   in Loop: Header=BB16_10 Depth=1
	s_ashr_i32 s31, s30, 31
	s_lshl_b64 s[30:31], s[30:31], 3
	s_waitcnt vmcnt(0)
	v_mov_b32_e32 v12, s31
	v_add_co_u32_e32 v11, vcc, s30, v16
	v_addc_co_u32_e32 v12, vcc, v17, v12, vcc
	global_load_dwordx2 v[11:12], v[11:12], off
.LBB16_15:                              ;   in Loop: Header=BB16_10 Depth=1
	s_or_b64 exec, exec, s[16:17]
	s_waitcnt vmcnt(0)
	ds_write_b64 v15, v[11:12]
	s_and_saveexec_b64 s[16:17], s[26:27]
	s_cbranch_execz .LBB16_9
; %bb.16:                               ;   in Loop: Header=BB16_10 Depth=1
	v_ashrrev_i32_e32 v11, 31, v10
	v_lshlrev_b64 v[11:12], 3, v[10:11]
	v_mov_b32_e32 v20, s15
	v_add_co_u32_e32 v11, vcc, s14, v11
	v_addc_co_u32_e32 v12, vcc, v20, v12, vcc
	global_load_dwordx2 v[11:12], v[11:12], off
	s_waitcnt vmcnt(0)
	ds_write_b64 v18, v[11:12]
	s_branch .LBB16_9
.LBB16_17:
	s_and_b64 s[0:1], s[22:23], s[0:1]
	s_and_b64 s[0:1], s[0:1], s[2:3]
	s_and_b64 exec, exec, s[0:1]
	s_cbranch_execz .LBB16_22
; %bb.18:
	s_load_dwordx2 s[0:1], s[4:5], 0x58
	v_cmp_neq_f64_e32 vcc, 0, v[2:3]
	v_mul_f64 v[4:5], v[4:5], v[8:9]
	v_lshl_add_u32 v0, s6, 1, v0
	s_waitcnt lgkmcnt(0)
	v_mul_lo_u32 v1, s1, v6
	v_mul_lo_u32 v8, s0, v7
	v_mad_u64_u32 v[6:7], s[0:1], s0, v6, 0
	v_add3_u32 v7, v7, v8, v1
	v_lshlrev_b64 v[6:7], 3, v[6:7]
	v_ashrrev_i32_e32 v1, 31, v0
	s_and_saveexec_b64 s[0:1], vcc
	s_xor_b64 s[0:1], exec, s[0:1]
	s_cbranch_execz .LBB16_20
; %bb.19:
	v_mov_b32_e32 v8, s11
	v_add_co_u32_e32 v6, vcc, s10, v6
	v_lshlrev_b64 v[0:1], 3, v[0:1]
	v_addc_co_u32_e32 v7, vcc, v8, v7, vcc
	v_add_co_u32_e32 v0, vcc, v6, v0
	v_addc_co_u32_e32 v1, vcc, v7, v1, vcc
	global_load_dwordx2 v[6:7], v[0:1], off
	s_waitcnt vmcnt(0)
	v_fma_f64 v[2:3], v[2:3], v[6:7], v[4:5]
                                        ; implicit-def: $vgpr6_vgpr7
                                        ; implicit-def: $vgpr4_vgpr5
	global_store_dwordx2 v[0:1], v[2:3], off
                                        ; implicit-def: $vgpr0
.LBB16_20:
	s_andn2_saveexec_b64 s[0:1], s[0:1]
	s_cbranch_execz .LBB16_22
; %bb.21:
	v_mov_b32_e32 v2, s11
	v_add_co_u32_e32 v3, vcc, s10, v6
	v_lshlrev_b64 v[0:1], 3, v[0:1]
	v_addc_co_u32_e32 v2, vcc, v2, v7, vcc
	v_add_co_u32_e32 v0, vcc, v3, v0
	v_addc_co_u32_e32 v1, vcc, v2, v1, vcc
	global_store_dwordx2 v[0:1], v[4:5], off
.LBB16_22:
	s_endpgm
	.section	.rodata,"a",@progbits
	.p2align	6, 0x0
	.amdhsa_kernel _ZN9rocsparseL29gebsrmm_small_blockdim_kernelILi2ELi3ELi3ELi16EdEEv20rocsparse_direction_20rocsparse_operation_iiNS_24const_host_device_scalarIT3_EEPKiS7_PKS4_iiS9_lS5_PS4_l21rocsparse_index_base_b
		.amdhsa_group_segment_fixed_size 456
		.amdhsa_private_segment_fixed_size 0
		.amdhsa_kernarg_size 104
		.amdhsa_user_sgpr_count 6
		.amdhsa_user_sgpr_private_segment_buffer 1
		.amdhsa_user_sgpr_dispatch_ptr 0
		.amdhsa_user_sgpr_queue_ptr 0
		.amdhsa_user_sgpr_kernarg_segment_ptr 1
		.amdhsa_user_sgpr_dispatch_id 0
		.amdhsa_user_sgpr_flat_scratch_init 0
		.amdhsa_user_sgpr_private_segment_size 0
		.amdhsa_uses_dynamic_stack 0
		.amdhsa_system_sgpr_private_segment_wavefront_offset 0
		.amdhsa_system_sgpr_workgroup_id_x 1
		.amdhsa_system_sgpr_workgroup_id_y 1
		.amdhsa_system_sgpr_workgroup_id_z 0
		.amdhsa_system_sgpr_workgroup_info 0
		.amdhsa_system_vgpr_workitem_id 1
		.amdhsa_next_free_vgpr 28
		.amdhsa_next_free_sgpr 36
		.amdhsa_reserve_vcc 1
		.amdhsa_reserve_flat_scratch 0
		.amdhsa_float_round_mode_32 0
		.amdhsa_float_round_mode_16_64 0
		.amdhsa_float_denorm_mode_32 3
		.amdhsa_float_denorm_mode_16_64 3
		.amdhsa_dx10_clamp 1
		.amdhsa_ieee_mode 1
		.amdhsa_fp16_overflow 0
		.amdhsa_exception_fp_ieee_invalid_op 0
		.amdhsa_exception_fp_denorm_src 0
		.amdhsa_exception_fp_ieee_div_zero 0
		.amdhsa_exception_fp_ieee_overflow 0
		.amdhsa_exception_fp_ieee_underflow 0
		.amdhsa_exception_fp_ieee_inexact 0
		.amdhsa_exception_int_div_zero 0
	.end_amdhsa_kernel
	.section	.text._ZN9rocsparseL29gebsrmm_small_blockdim_kernelILi2ELi3ELi3ELi16EdEEv20rocsparse_direction_20rocsparse_operation_iiNS_24const_host_device_scalarIT3_EEPKiS7_PKS4_iiS9_lS5_PS4_l21rocsparse_index_base_b,"axG",@progbits,_ZN9rocsparseL29gebsrmm_small_blockdim_kernelILi2ELi3ELi3ELi16EdEEv20rocsparse_direction_20rocsparse_operation_iiNS_24const_host_device_scalarIT3_EEPKiS7_PKS4_iiS9_lS5_PS4_l21rocsparse_index_base_b,comdat
.Lfunc_end16:
	.size	_ZN9rocsparseL29gebsrmm_small_blockdim_kernelILi2ELi3ELi3ELi16EdEEv20rocsparse_direction_20rocsparse_operation_iiNS_24const_host_device_scalarIT3_EEPKiS7_PKS4_iiS9_lS5_PS4_l21rocsparse_index_base_b, .Lfunc_end16-_ZN9rocsparseL29gebsrmm_small_blockdim_kernelILi2ELi3ELi3ELi16EdEEv20rocsparse_direction_20rocsparse_operation_iiNS_24const_host_device_scalarIT3_EEPKiS7_PKS4_iiS9_lS5_PS4_l21rocsparse_index_base_b
                                        ; -- End function
	.set _ZN9rocsparseL29gebsrmm_small_blockdim_kernelILi2ELi3ELi3ELi16EdEEv20rocsparse_direction_20rocsparse_operation_iiNS_24const_host_device_scalarIT3_EEPKiS7_PKS4_iiS9_lS5_PS4_l21rocsparse_index_base_b.num_vgpr, 28
	.set _ZN9rocsparseL29gebsrmm_small_blockdim_kernelILi2ELi3ELi3ELi16EdEEv20rocsparse_direction_20rocsparse_operation_iiNS_24const_host_device_scalarIT3_EEPKiS7_PKS4_iiS9_lS5_PS4_l21rocsparse_index_base_b.num_agpr, 0
	.set _ZN9rocsparseL29gebsrmm_small_blockdim_kernelILi2ELi3ELi3ELi16EdEEv20rocsparse_direction_20rocsparse_operation_iiNS_24const_host_device_scalarIT3_EEPKiS7_PKS4_iiS9_lS5_PS4_l21rocsparse_index_base_b.numbered_sgpr, 36
	.set _ZN9rocsparseL29gebsrmm_small_blockdim_kernelILi2ELi3ELi3ELi16EdEEv20rocsparse_direction_20rocsparse_operation_iiNS_24const_host_device_scalarIT3_EEPKiS7_PKS4_iiS9_lS5_PS4_l21rocsparse_index_base_b.num_named_barrier, 0
	.set _ZN9rocsparseL29gebsrmm_small_blockdim_kernelILi2ELi3ELi3ELi16EdEEv20rocsparse_direction_20rocsparse_operation_iiNS_24const_host_device_scalarIT3_EEPKiS7_PKS4_iiS9_lS5_PS4_l21rocsparse_index_base_b.private_seg_size, 0
	.set _ZN9rocsparseL29gebsrmm_small_blockdim_kernelILi2ELi3ELi3ELi16EdEEv20rocsparse_direction_20rocsparse_operation_iiNS_24const_host_device_scalarIT3_EEPKiS7_PKS4_iiS9_lS5_PS4_l21rocsparse_index_base_b.uses_vcc, 1
	.set _ZN9rocsparseL29gebsrmm_small_blockdim_kernelILi2ELi3ELi3ELi16EdEEv20rocsparse_direction_20rocsparse_operation_iiNS_24const_host_device_scalarIT3_EEPKiS7_PKS4_iiS9_lS5_PS4_l21rocsparse_index_base_b.uses_flat_scratch, 0
	.set _ZN9rocsparseL29gebsrmm_small_blockdim_kernelILi2ELi3ELi3ELi16EdEEv20rocsparse_direction_20rocsparse_operation_iiNS_24const_host_device_scalarIT3_EEPKiS7_PKS4_iiS9_lS5_PS4_l21rocsparse_index_base_b.has_dyn_sized_stack, 0
	.set _ZN9rocsparseL29gebsrmm_small_blockdim_kernelILi2ELi3ELi3ELi16EdEEv20rocsparse_direction_20rocsparse_operation_iiNS_24const_host_device_scalarIT3_EEPKiS7_PKS4_iiS9_lS5_PS4_l21rocsparse_index_base_b.has_recursion, 0
	.set _ZN9rocsparseL29gebsrmm_small_blockdim_kernelILi2ELi3ELi3ELi16EdEEv20rocsparse_direction_20rocsparse_operation_iiNS_24const_host_device_scalarIT3_EEPKiS7_PKS4_iiS9_lS5_PS4_l21rocsparse_index_base_b.has_indirect_call, 0
	.section	.AMDGPU.csdata,"",@progbits
; Kernel info:
; codeLenInByte = 1032
; TotalNumSgprs: 40
; NumVgprs: 28
; ScratchSize: 0
; MemoryBound: 0
; FloatMode: 240
; IeeeMode: 1
; LDSByteSize: 456 bytes/workgroup (compile time only)
; SGPRBlocks: 4
; VGPRBlocks: 6
; NumSGPRsForWavesPerEU: 40
; NumVGPRsForWavesPerEU: 28
; Occupancy: 9
; WaveLimiterHint : 1
; COMPUTE_PGM_RSRC2:SCRATCH_EN: 0
; COMPUTE_PGM_RSRC2:USER_SGPR: 6
; COMPUTE_PGM_RSRC2:TRAP_HANDLER: 0
; COMPUTE_PGM_RSRC2:TGID_X_EN: 1
; COMPUTE_PGM_RSRC2:TGID_Y_EN: 1
; COMPUTE_PGM_RSRC2:TGID_Z_EN: 0
; COMPUTE_PGM_RSRC2:TIDIG_COMP_CNT: 1
	.section	.text._ZN9rocsparseL29gebsrmm_small_blockdim_kernelILi2ELi4ELi4ELi16EdEEv20rocsparse_direction_20rocsparse_operation_iiNS_24const_host_device_scalarIT3_EEPKiS7_PKS4_iiS9_lS5_PS4_l21rocsparse_index_base_b,"axG",@progbits,_ZN9rocsparseL29gebsrmm_small_blockdim_kernelILi2ELi4ELi4ELi16EdEEv20rocsparse_direction_20rocsparse_operation_iiNS_24const_host_device_scalarIT3_EEPKiS7_PKS4_iiS9_lS5_PS4_l21rocsparse_index_base_b,comdat
	.globl	_ZN9rocsparseL29gebsrmm_small_blockdim_kernelILi2ELi4ELi4ELi16EdEEv20rocsparse_direction_20rocsparse_operation_iiNS_24const_host_device_scalarIT3_EEPKiS7_PKS4_iiS9_lS5_PS4_l21rocsparse_index_base_b ; -- Begin function _ZN9rocsparseL29gebsrmm_small_blockdim_kernelILi2ELi4ELi4ELi16EdEEv20rocsparse_direction_20rocsparse_operation_iiNS_24const_host_device_scalarIT3_EEPKiS7_PKS4_iiS9_lS5_PS4_l21rocsparse_index_base_b
	.p2align	8
	.type	_ZN9rocsparseL29gebsrmm_small_blockdim_kernelILi2ELi4ELi4ELi16EdEEv20rocsparse_direction_20rocsparse_operation_iiNS_24const_host_device_scalarIT3_EEPKiS7_PKS4_iiS9_lS5_PS4_l21rocsparse_index_base_b,@function
_ZN9rocsparseL29gebsrmm_small_blockdim_kernelILi2ELi4ELi4ELi16EdEEv20rocsparse_direction_20rocsparse_operation_iiNS_24const_host_device_scalarIT3_EEPKiS7_PKS4_iiS9_lS5_PS4_l21rocsparse_index_base_b: ; @_ZN9rocsparseL29gebsrmm_small_blockdim_kernelILi2ELi4ELi4ELi16EdEEv20rocsparse_direction_20rocsparse_operation_iiNS_24const_host_device_scalarIT3_EEPKiS7_PKS4_iiS9_lS5_PS4_l21rocsparse_index_base_b
; %bb.0:
	s_load_dwordx2 s[20:21], s[4:5], 0x60
	s_load_dwordx2 s[2:3], s[4:5], 0x10
	s_load_dwordx4 s[8:11], s[4:5], 0x40
	s_waitcnt lgkmcnt(0)
	s_bitcmp1_b32 s21, 0
	s_cselect_b64 s[12:13], -1, 0
	v_mov_b32_e32 v5, s3
	s_xor_b64 s[0:1], s[12:13], -1
	s_and_b64 vcc, exec, s[12:13]
	v_mov_b32_e32 v4, s2
	s_cbranch_vccnz .LBB17_2
; %bb.1:
	v_mov_b32_e32 v2, s2
	v_mov_b32_e32 v3, s3
	flat_load_dwordx2 v[4:5], v[2:3]
.LBB17_2:
	v_mov_b32_e32 v2, s10
	s_andn2_b64 vcc, exec, s[0:1]
	v_mov_b32_e32 v3, s11
	s_cbranch_vccnz .LBB17_4
; %bb.3:
	v_mov_b32_e32 v2, s10
	v_mov_b32_e32 v3, s11
	flat_load_dwordx2 v[2:3], v[2:3]
.LBB17_4:
	s_waitcnt vmcnt(0) lgkmcnt(0)
	v_cmp_neq_f64_e32 vcc, 0, v[4:5]
	v_cmp_neq_f64_e64 s[0:1], 1.0, v[2:3]
	s_or_b64 s[0:1], vcc, s[0:1]
	s_and_saveexec_b64 s[2:3], s[0:1]
	s_cbranch_execz .LBB17_22
; %bb.5:
	s_load_dwordx4 s[16:19], s[4:5], 0x0
	s_mov_b32 s21, 0
	s_waitcnt lgkmcnt(0)
	s_cmp_lt_i32 s6, s18
	s_cselect_b64 s[22:23], -1, 0
	s_cmp_ge_i32 s6, s18
	s_mov_b32 s18, 0
	s_cbranch_scc1 .LBB17_7
; %bb.6:
	s_load_dwordx2 s[2:3], s[4:5], 0x18
	s_mov_b32 s0, s7
	s_ashr_i32 s7, s6, 31
	s_lshl_b64 s[10:11], s[6:7], 2
	s_mov_b32 s7, s0
	s_waitcnt lgkmcnt(0)
	s_add_u32 s0, s2, s10
	s_addc_u32 s1, s3, s11
	s_load_dwordx2 s[2:3], s[0:1], 0x0
	s_waitcnt lgkmcnt(0)
	s_sub_i32 s18, s2, s20
	s_sub_i32 s21, s3, s20
.LBB17_7:
	s_load_dwordx2 s[10:11], s[4:5], 0x50
	v_lshl_add_u32 v6, s7, 4, v1
	v_mov_b32_e32 v8, 0
	v_ashrrev_i32_e32 v7, 31, v6
	v_cmp_gt_i32_e64 s[0:1], s19, v6
	v_mov_b32_e32 v9, 0
	s_cmp_ge_i32 s18, s21
	v_cmp_gt_u32_e64 s[2:3], 2, v0
	s_cbranch_scc1 .LBB17_17
; %bb.8:
	s_load_dwordx4 s[12:15], s[4:5], 0x20
	s_load_dwordx2 s[30:31], s[4:5], 0x38
	v_mul_lo_u32 v15, s9, v6
	v_mul_lo_u32 v16, s8, v7
	v_mad_u64_u32 v[10:11], s[28:29], s8, v6, 0
	v_cmp_gt_u32_e32 vcc, 4, v0
	v_lshlrev_b64 v[8:9], 3, v[6:7]
	s_and_b64 s[24:25], s[0:1], vcc
	v_cmp_gt_u32_e32 vcc, 4, v1
	s_and_b64 s[26:27], s[2:3], vcc
	s_waitcnt lgkmcnt(0)
	v_mov_b32_e32 v12, s31
	v_add_co_u32_e32 v13, vcc, s30, v8
	v_add3_u32 v11, v11, v16, v15
	v_addc_co_u32_e32 v14, vcc, v12, v9, vcc
	v_lshlrev_b64 v[8:9], 3, v[10:11]
	v_mov_b32_e32 v10, s31
	v_add_co_u32_e32 v8, vcc, s30, v8
	v_addc_co_u32_e32 v9, vcc, v10, v9, vcc
	v_lshlrev_b32_e32 v10, 3, v0
	s_cmpk_lg_i32 s17, 0x6f
	v_add_co_u32_e32 v16, vcc, v8, v10
	s_cselect_b64 s[28:29], -1, 0
	v_addc_co_u32_e32 v17, vcc, 0, v9, vcc
	s_cmp_eq_u32 s16, 0
	v_lshl_add_u32 v12, v1, 2, v0
	v_lshlrev_b32_e32 v8, 1, v1
	s_cselect_b64 vcc, -1, 0
	s_ashr_i32 s19, s18, 31
	v_sub_u32_e32 v8, v12, v8
	v_lshl_add_u32 v9, v0, 2, v1
	s_lshl_b64 s[16:17], s[18:19], 2
	v_lshlrev_b32_e32 v15, 3, v12
	v_add_u32_e32 v19, 0x200, v10
	v_cndmask_b32_e32 v10, v8, v9, vcc
	s_add_u32 s12, s12, s16
	v_mov_b32_e32 v8, 0
	v_add_u32_e32 v18, 0x200, v15
	v_lshlrev_b32_e32 v1, 5, v1
	s_addc_u32 s13, s13, s17
	v_mov_b32_e32 v9, 0
	v_lshl_add_u32 v10, s18, 3, v10
	s_branch .LBB17_10
.LBB17_9:                               ;   in Loop: Header=BB17_10 Depth=1
	s_or_b64 exec, exec, s[16:17]
	s_waitcnt lgkmcnt(0)
	; wave barrier
	ds_read2_b64 v[20:23], v19 offset1:4
	ds_read_b128 v[24:27], v1
	ds_read_b128 v[28:31], v1 offset:16
	s_add_i32 s18, s18, 1
	s_add_u32 s12, s12, 4
	s_addc_u32 s13, s13, 0
	s_waitcnt lgkmcnt(1)
	v_fma_f64 v[8:9], v[20:21], v[24:25], v[8:9]
	s_cmp_ge_i32 s18, s21
	v_add_u32_e32 v10, 8, v10
	v_fma_f64 v[8:9], v[22:23], v[26:27], v[8:9]
	ds_read2_b64 v[20:23], v19 offset0:8 offset1:12
	s_waitcnt lgkmcnt(0)
	; wave barrier
	v_fma_f64 v[8:9], v[20:21], v[28:29], v[8:9]
	v_fma_f64 v[8:9], v[22:23], v[30:31], v[8:9]
	s_cbranch_scc1 .LBB17_17
.LBB17_10:                              ; =>This Inner Loop Header: Depth=1
	v_mov_b32_e32 v11, 0
	v_mov_b32_e32 v12, 0
	s_and_saveexec_b64 s[16:17], s[24:25]
	s_cbranch_execz .LBB17_15
; %bb.11:                               ;   in Loop: Header=BB17_10 Depth=1
	s_load_dword s7, s[12:13], 0x0
	s_mov_b64 s[34:35], -1
	s_and_b64 vcc, exec, s[28:29]
                                        ; implicit-def: $vgpr11_vgpr12
	s_waitcnt lgkmcnt(0)
	s_sub_i32 s7, s7, s20
	s_lshl_b32 s30, s7, 2
	s_cbranch_vccz .LBB17_13
; %bb.12:                               ;   in Loop: Header=BB17_10 Depth=1
	v_or_b32_e32 v11, s30, v0
	v_mul_lo_u32 v20, s9, v11
	v_mad_u64_u32 v[11:12], s[34:35], s8, v11, 0
	s_ashr_i32 s7, s30, 31
	s_mul_i32 s7, s8, s7
	v_add3_u32 v12, v12, s7, v20
	v_lshlrev_b64 v[11:12], 3, v[11:12]
	s_mov_b64 s[34:35], 0
	v_add_co_u32_e32 v11, vcc, v13, v11
	v_addc_co_u32_e32 v12, vcc, v14, v12, vcc
	global_load_dwordx2 v[11:12], v[11:12], off
.LBB17_13:                              ;   in Loop: Header=BB17_10 Depth=1
	s_andn2_b64 vcc, exec, s[34:35]
	s_cbranch_vccnz .LBB17_15
; %bb.14:                               ;   in Loop: Header=BB17_10 Depth=1
	s_ashr_i32 s31, s30, 31
	s_lshl_b64 s[30:31], s[30:31], 3
	s_waitcnt vmcnt(0)
	v_mov_b32_e32 v12, s31
	v_add_co_u32_e32 v11, vcc, s30, v16
	v_addc_co_u32_e32 v12, vcc, v17, v12, vcc
	global_load_dwordx2 v[11:12], v[11:12], off
.LBB17_15:                              ;   in Loop: Header=BB17_10 Depth=1
	s_or_b64 exec, exec, s[16:17]
	s_waitcnt vmcnt(0)
	ds_write_b64 v15, v[11:12]
	s_and_saveexec_b64 s[16:17], s[26:27]
	s_cbranch_execz .LBB17_9
; %bb.16:                               ;   in Loop: Header=BB17_10 Depth=1
	v_ashrrev_i32_e32 v11, 31, v10
	v_lshlrev_b64 v[11:12], 3, v[10:11]
	v_mov_b32_e32 v20, s15
	v_add_co_u32_e32 v11, vcc, s14, v11
	v_addc_co_u32_e32 v12, vcc, v20, v12, vcc
	global_load_dwordx2 v[11:12], v[11:12], off
	s_waitcnt vmcnt(0)
	ds_write_b64 v18, v[11:12]
	s_branch .LBB17_9
.LBB17_17:
	s_and_b64 s[0:1], s[22:23], s[0:1]
	s_and_b64 s[0:1], s[0:1], s[2:3]
	s_and_b64 exec, exec, s[0:1]
	s_cbranch_execz .LBB17_22
; %bb.18:
	s_load_dwordx2 s[0:1], s[4:5], 0x58
	v_cmp_neq_f64_e32 vcc, 0, v[2:3]
	v_mul_f64 v[4:5], v[4:5], v[8:9]
	v_lshl_add_u32 v0, s6, 1, v0
	s_waitcnt lgkmcnt(0)
	v_mul_lo_u32 v1, s1, v6
	v_mul_lo_u32 v8, s0, v7
	v_mad_u64_u32 v[6:7], s[0:1], s0, v6, 0
	v_add3_u32 v7, v7, v8, v1
	v_lshlrev_b64 v[6:7], 3, v[6:7]
	v_ashrrev_i32_e32 v1, 31, v0
	s_and_saveexec_b64 s[0:1], vcc
	s_xor_b64 s[0:1], exec, s[0:1]
	s_cbranch_execz .LBB17_20
; %bb.19:
	v_mov_b32_e32 v8, s11
	v_add_co_u32_e32 v6, vcc, s10, v6
	v_lshlrev_b64 v[0:1], 3, v[0:1]
	v_addc_co_u32_e32 v7, vcc, v8, v7, vcc
	v_add_co_u32_e32 v0, vcc, v6, v0
	v_addc_co_u32_e32 v1, vcc, v7, v1, vcc
	global_load_dwordx2 v[6:7], v[0:1], off
	s_waitcnt vmcnt(0)
	v_fma_f64 v[2:3], v[2:3], v[6:7], v[4:5]
                                        ; implicit-def: $vgpr6_vgpr7
                                        ; implicit-def: $vgpr4_vgpr5
	global_store_dwordx2 v[0:1], v[2:3], off
                                        ; implicit-def: $vgpr0
.LBB17_20:
	s_andn2_saveexec_b64 s[0:1], s[0:1]
	s_cbranch_execz .LBB17_22
; %bb.21:
	v_mov_b32_e32 v2, s11
	v_add_co_u32_e32 v3, vcc, s10, v6
	v_lshlrev_b64 v[0:1], 3, v[0:1]
	v_addc_co_u32_e32 v2, vcc, v2, v7, vcc
	v_add_co_u32_e32 v0, vcc, v3, v0
	v_addc_co_u32_e32 v1, vcc, v2, v1, vcc
	global_store_dwordx2 v[0:1], v[4:5], off
.LBB17_22:
	s_endpgm
	.section	.rodata,"a",@progbits
	.p2align	6, 0x0
	.amdhsa_kernel _ZN9rocsparseL29gebsrmm_small_blockdim_kernelILi2ELi4ELi4ELi16EdEEv20rocsparse_direction_20rocsparse_operation_iiNS_24const_host_device_scalarIT3_EEPKiS7_PKS4_iiS9_lS5_PS4_l21rocsparse_index_base_b
		.amdhsa_group_segment_fixed_size 640
		.amdhsa_private_segment_fixed_size 0
		.amdhsa_kernarg_size 104
		.amdhsa_user_sgpr_count 6
		.amdhsa_user_sgpr_private_segment_buffer 1
		.amdhsa_user_sgpr_dispatch_ptr 0
		.amdhsa_user_sgpr_queue_ptr 0
		.amdhsa_user_sgpr_kernarg_segment_ptr 1
		.amdhsa_user_sgpr_dispatch_id 0
		.amdhsa_user_sgpr_flat_scratch_init 0
		.amdhsa_user_sgpr_private_segment_size 0
		.amdhsa_uses_dynamic_stack 0
		.amdhsa_system_sgpr_private_segment_wavefront_offset 0
		.amdhsa_system_sgpr_workgroup_id_x 1
		.amdhsa_system_sgpr_workgroup_id_y 1
		.amdhsa_system_sgpr_workgroup_id_z 0
		.amdhsa_system_sgpr_workgroup_info 0
		.amdhsa_system_vgpr_workitem_id 1
		.amdhsa_next_free_vgpr 32
		.amdhsa_next_free_sgpr 36
		.amdhsa_reserve_vcc 1
		.amdhsa_reserve_flat_scratch 0
		.amdhsa_float_round_mode_32 0
		.amdhsa_float_round_mode_16_64 0
		.amdhsa_float_denorm_mode_32 3
		.amdhsa_float_denorm_mode_16_64 3
		.amdhsa_dx10_clamp 1
		.amdhsa_ieee_mode 1
		.amdhsa_fp16_overflow 0
		.amdhsa_exception_fp_ieee_invalid_op 0
		.amdhsa_exception_fp_denorm_src 0
		.amdhsa_exception_fp_ieee_div_zero 0
		.amdhsa_exception_fp_ieee_overflow 0
		.amdhsa_exception_fp_ieee_underflow 0
		.amdhsa_exception_fp_ieee_inexact 0
		.amdhsa_exception_int_div_zero 0
	.end_amdhsa_kernel
	.section	.text._ZN9rocsparseL29gebsrmm_small_blockdim_kernelILi2ELi4ELi4ELi16EdEEv20rocsparse_direction_20rocsparse_operation_iiNS_24const_host_device_scalarIT3_EEPKiS7_PKS4_iiS9_lS5_PS4_l21rocsparse_index_base_b,"axG",@progbits,_ZN9rocsparseL29gebsrmm_small_blockdim_kernelILi2ELi4ELi4ELi16EdEEv20rocsparse_direction_20rocsparse_operation_iiNS_24const_host_device_scalarIT3_EEPKiS7_PKS4_iiS9_lS5_PS4_l21rocsparse_index_base_b,comdat
.Lfunc_end17:
	.size	_ZN9rocsparseL29gebsrmm_small_blockdim_kernelILi2ELi4ELi4ELi16EdEEv20rocsparse_direction_20rocsparse_operation_iiNS_24const_host_device_scalarIT3_EEPKiS7_PKS4_iiS9_lS5_PS4_l21rocsparse_index_base_b, .Lfunc_end17-_ZN9rocsparseL29gebsrmm_small_blockdim_kernelILi2ELi4ELi4ELi16EdEEv20rocsparse_direction_20rocsparse_operation_iiNS_24const_host_device_scalarIT3_EEPKiS7_PKS4_iiS9_lS5_PS4_l21rocsparse_index_base_b
                                        ; -- End function
	.set _ZN9rocsparseL29gebsrmm_small_blockdim_kernelILi2ELi4ELi4ELi16EdEEv20rocsparse_direction_20rocsparse_operation_iiNS_24const_host_device_scalarIT3_EEPKiS7_PKS4_iiS9_lS5_PS4_l21rocsparse_index_base_b.num_vgpr, 32
	.set _ZN9rocsparseL29gebsrmm_small_blockdim_kernelILi2ELi4ELi4ELi16EdEEv20rocsparse_direction_20rocsparse_operation_iiNS_24const_host_device_scalarIT3_EEPKiS7_PKS4_iiS9_lS5_PS4_l21rocsparse_index_base_b.num_agpr, 0
	.set _ZN9rocsparseL29gebsrmm_small_blockdim_kernelILi2ELi4ELi4ELi16EdEEv20rocsparse_direction_20rocsparse_operation_iiNS_24const_host_device_scalarIT3_EEPKiS7_PKS4_iiS9_lS5_PS4_l21rocsparse_index_base_b.numbered_sgpr, 36
	.set _ZN9rocsparseL29gebsrmm_small_blockdim_kernelILi2ELi4ELi4ELi16EdEEv20rocsparse_direction_20rocsparse_operation_iiNS_24const_host_device_scalarIT3_EEPKiS7_PKS4_iiS9_lS5_PS4_l21rocsparse_index_base_b.num_named_barrier, 0
	.set _ZN9rocsparseL29gebsrmm_small_blockdim_kernelILi2ELi4ELi4ELi16EdEEv20rocsparse_direction_20rocsparse_operation_iiNS_24const_host_device_scalarIT3_EEPKiS7_PKS4_iiS9_lS5_PS4_l21rocsparse_index_base_b.private_seg_size, 0
	.set _ZN9rocsparseL29gebsrmm_small_blockdim_kernelILi2ELi4ELi4ELi16EdEEv20rocsparse_direction_20rocsparse_operation_iiNS_24const_host_device_scalarIT3_EEPKiS7_PKS4_iiS9_lS5_PS4_l21rocsparse_index_base_b.uses_vcc, 1
	.set _ZN9rocsparseL29gebsrmm_small_blockdim_kernelILi2ELi4ELi4ELi16EdEEv20rocsparse_direction_20rocsparse_operation_iiNS_24const_host_device_scalarIT3_EEPKiS7_PKS4_iiS9_lS5_PS4_l21rocsparse_index_base_b.uses_flat_scratch, 0
	.set _ZN9rocsparseL29gebsrmm_small_blockdim_kernelILi2ELi4ELi4ELi16EdEEv20rocsparse_direction_20rocsparse_operation_iiNS_24const_host_device_scalarIT3_EEPKiS7_PKS4_iiS9_lS5_PS4_l21rocsparse_index_base_b.has_dyn_sized_stack, 0
	.set _ZN9rocsparseL29gebsrmm_small_blockdim_kernelILi2ELi4ELi4ELi16EdEEv20rocsparse_direction_20rocsparse_operation_iiNS_24const_host_device_scalarIT3_EEPKiS7_PKS4_iiS9_lS5_PS4_l21rocsparse_index_base_b.has_recursion, 0
	.set _ZN9rocsparseL29gebsrmm_small_blockdim_kernelILi2ELi4ELi4ELi16EdEEv20rocsparse_direction_20rocsparse_operation_iiNS_24const_host_device_scalarIT3_EEPKiS7_PKS4_iiS9_lS5_PS4_l21rocsparse_index_base_b.has_indirect_call, 0
	.section	.AMDGPU.csdata,"",@progbits
; Kernel info:
; codeLenInByte = 1036
; TotalNumSgprs: 40
; NumVgprs: 32
; ScratchSize: 0
; MemoryBound: 0
; FloatMode: 240
; IeeeMode: 1
; LDSByteSize: 640 bytes/workgroup (compile time only)
; SGPRBlocks: 4
; VGPRBlocks: 7
; NumSGPRsForWavesPerEU: 40
; NumVGPRsForWavesPerEU: 32
; Occupancy: 8
; WaveLimiterHint : 1
; COMPUTE_PGM_RSRC2:SCRATCH_EN: 0
; COMPUTE_PGM_RSRC2:USER_SGPR: 6
; COMPUTE_PGM_RSRC2:TRAP_HANDLER: 0
; COMPUTE_PGM_RSRC2:TGID_X_EN: 1
; COMPUTE_PGM_RSRC2:TGID_Y_EN: 1
; COMPUTE_PGM_RSRC2:TGID_Z_EN: 0
; COMPUTE_PGM_RSRC2:TIDIG_COMP_CNT: 1
	.section	.text._ZN9rocsparseL29gebsrmm_small_blockdim_kernelILi3ELi1ELi3ELi16EdEEv20rocsparse_direction_20rocsparse_operation_iiNS_24const_host_device_scalarIT3_EEPKiS7_PKS4_iiS9_lS5_PS4_l21rocsparse_index_base_b,"axG",@progbits,_ZN9rocsparseL29gebsrmm_small_blockdim_kernelILi3ELi1ELi3ELi16EdEEv20rocsparse_direction_20rocsparse_operation_iiNS_24const_host_device_scalarIT3_EEPKiS7_PKS4_iiS9_lS5_PS4_l21rocsparse_index_base_b,comdat
	.globl	_ZN9rocsparseL29gebsrmm_small_blockdim_kernelILi3ELi1ELi3ELi16EdEEv20rocsparse_direction_20rocsparse_operation_iiNS_24const_host_device_scalarIT3_EEPKiS7_PKS4_iiS9_lS5_PS4_l21rocsparse_index_base_b ; -- Begin function _ZN9rocsparseL29gebsrmm_small_blockdim_kernelILi3ELi1ELi3ELi16EdEEv20rocsparse_direction_20rocsparse_operation_iiNS_24const_host_device_scalarIT3_EEPKiS7_PKS4_iiS9_lS5_PS4_l21rocsparse_index_base_b
	.p2align	8
	.type	_ZN9rocsparseL29gebsrmm_small_blockdim_kernelILi3ELi1ELi3ELi16EdEEv20rocsparse_direction_20rocsparse_operation_iiNS_24const_host_device_scalarIT3_EEPKiS7_PKS4_iiS9_lS5_PS4_l21rocsparse_index_base_b,@function
_ZN9rocsparseL29gebsrmm_small_blockdim_kernelILi3ELi1ELi3ELi16EdEEv20rocsparse_direction_20rocsparse_operation_iiNS_24const_host_device_scalarIT3_EEPKiS7_PKS4_iiS9_lS5_PS4_l21rocsparse_index_base_b: ; @_ZN9rocsparseL29gebsrmm_small_blockdim_kernelILi3ELi1ELi3ELi16EdEEv20rocsparse_direction_20rocsparse_operation_iiNS_24const_host_device_scalarIT3_EEPKiS7_PKS4_iiS9_lS5_PS4_l21rocsparse_index_base_b
; %bb.0:
	s_load_dwordx2 s[20:21], s[4:5], 0x60
	s_load_dwordx2 s[2:3], s[4:5], 0x10
	s_load_dwordx4 s[8:11], s[4:5], 0x40
	s_waitcnt lgkmcnt(0)
	s_bitcmp1_b32 s21, 0
	s_cselect_b64 s[12:13], -1, 0
	v_mov_b32_e32 v5, s3
	s_xor_b64 s[0:1], s[12:13], -1
	s_and_b64 vcc, exec, s[12:13]
	v_mov_b32_e32 v4, s2
	s_cbranch_vccnz .LBB18_2
; %bb.1:
	v_mov_b32_e32 v2, s2
	v_mov_b32_e32 v3, s3
	flat_load_dwordx2 v[4:5], v[2:3]
.LBB18_2:
	v_mov_b32_e32 v2, s10
	s_andn2_b64 vcc, exec, s[0:1]
	v_mov_b32_e32 v3, s11
	s_cbranch_vccnz .LBB18_4
; %bb.3:
	v_mov_b32_e32 v2, s10
	v_mov_b32_e32 v3, s11
	flat_load_dwordx2 v[2:3], v[2:3]
.LBB18_4:
	s_waitcnt vmcnt(0) lgkmcnt(0)
	v_cmp_neq_f64_e32 vcc, 0, v[4:5]
	v_cmp_neq_f64_e64 s[0:1], 1.0, v[2:3]
	s_or_b64 s[0:1], vcc, s[0:1]
	s_and_saveexec_b64 s[2:3], s[0:1]
	s_cbranch_execz .LBB18_22
; %bb.5:
	s_load_dwordx4 s[16:19], s[4:5], 0x4
	s_mov_b32 s21, 0
	s_mov_b32 s24, 0
	s_waitcnt lgkmcnt(0)
	s_cmp_lt_i32 s6, s17
	s_cselect_b64 s[22:23], -1, 0
	s_cmp_ge_i32 s6, s17
	s_cbranch_scc1 .LBB18_7
; %bb.6:
	s_load_dwordx2 s[2:3], s[4:5], 0x18
	s_mov_b32 s0, s7
	s_ashr_i32 s7, s6, 31
	s_lshl_b64 s[10:11], s[6:7], 2
	s_mov_b32 s7, s0
	s_waitcnt lgkmcnt(0)
	s_add_u32 s0, s2, s10
	s_addc_u32 s1, s3, s11
	s_load_dwordx2 s[2:3], s[0:1], 0x0
	s_waitcnt lgkmcnt(0)
	s_sub_i32 s24, s2, s20
	s_sub_i32 s21, s3, s20
.LBB18_7:
	s_load_dwordx2 s[10:11], s[4:5], 0x50
	v_lshl_add_u32 v6, s7, 4, v1
	v_mov_b32_e32 v8, 0
	v_ashrrev_i32_e32 v7, 31, v6
	v_cmp_gt_i32_e64 s[0:1], s18, v6
	v_mov_b32_e32 v9, 0
	s_cmp_ge_i32 s24, s21
	v_cmp_gt_u32_e64 s[2:3], 3, v0
	s_cbranch_scc1 .LBB18_17
; %bb.8:
	s_load_dwordx4 s[12:15], s[4:5], 0x20
	s_load_dwordx2 s[28:29], s[4:5], 0x38
	v_mul_lo_u32 v15, s9, v6
	v_mul_lo_u32 v16, s8, v7
	v_mad_u64_u32 v[10:11], s[30:31], s8, v6, 0
	v_cmp_eq_u32_e32 vcc, 0, v0
	v_lshlrev_b64 v[8:9], 3, v[6:7]
	s_and_b64 s[18:19], vcc, s[0:1]
	v_cmp_eq_u32_e32 vcc, 0, v1
	s_and_b64 s[26:27], s[2:3], vcc
	s_waitcnt lgkmcnt(0)
	v_mov_b32_e32 v12, s29
	v_add_co_u32_e32 v13, vcc, s28, v8
	v_add3_u32 v11, v11, v16, v15
	v_addc_co_u32_e32 v14, vcc, v12, v9, vcc
	v_lshlrev_b64 v[8:9], 3, v[10:11]
	v_mul_u32_u24_e32 v12, 3, v1
	v_add_lshl_u32 v1, v12, v0, 3
	s_cmpk_lg_i32 s16, 0x6f
	v_mov_b32_e32 v10, s29
	v_add_co_u32_e32 v15, vcc, s28, v8
	s_cselect_b64 s[16:17], -1, 0
	v_addc_co_u32_e32 v16, vcc, v10, v9, vcc
	s_ashr_i32 s25, s24, 31
	v_mad_u64_u32 v[10:11], s[30:31], s24, 3, v[0:1]
	v_mov_b32_e32 v8, 0x180
	s_lshl_b64 s[28:29], s[24:25], 2
	v_lshl_add_u32 v18, v0, 3, v8
	s_add_u32 s12, s12, s28
	v_mov_b32_e32 v8, 0
	v_add_u32_e32 v17, 0x180, v1
	v_lshlrev_b32_e32 v19, 3, v12
	v_mov_b32_e32 v9, 0
	s_addc_u32 s13, s13, s29
	s_branch .LBB18_10
.LBB18_9:                               ;   in Loop: Header=BB18_10 Depth=1
	s_or_b64 exec, exec, s[28:29]
	s_waitcnt lgkmcnt(0)
	; wave barrier
	ds_read_b64 v[11:12], v18
	ds_read_b64 v[20:21], v19
	s_add_i32 s24, s24, 1
	s_add_u32 s12, s12, 4
	s_addc_u32 s13, s13, 0
	s_cmp_ge_i32 s24, s21
	s_waitcnt lgkmcnt(0)
	v_fma_f64 v[8:9], v[11:12], v[20:21], v[8:9]
	v_add_u32_e32 v10, 3, v10
	; wave barrier
	s_cbranch_scc1 .LBB18_17
.LBB18_10:                              ; =>This Inner Loop Header: Depth=1
	v_mov_b32_e32 v11, 0
	v_mov_b32_e32 v12, 0
	s_and_saveexec_b64 s[28:29], s[18:19]
	s_cbranch_execz .LBB18_15
; %bb.11:                               ;   in Loop: Header=BB18_10 Depth=1
	s_load_dword s7, s[12:13], 0x0
	s_mov_b64 s[34:35], -1
	s_and_b64 vcc, exec, s[16:17]
                                        ; implicit-def: $vgpr11_vgpr12
	s_waitcnt lgkmcnt(0)
	s_sub_i32 s30, s7, s20
	s_ashr_i32 s31, s30, 31
	s_cbranch_vccz .LBB18_13
; %bb.12:                               ;   in Loop: Header=BB18_10 Depth=1
	s_mul_i32 s7, s8, s31
	s_mul_hi_u32 s25, s8, s30
	s_add_i32 s7, s25, s7
	s_mul_i32 s25, s9, s30
	s_add_i32 s35, s7, s25
	s_mul_i32 s34, s8, s30
	s_lshl_b64 s[34:35], s[34:35], 3
	v_mov_b32_e32 v12, s35
	v_add_co_u32_e32 v11, vcc, s34, v13
	v_addc_co_u32_e32 v12, vcc, v14, v12, vcc
	global_load_dwordx2 v[11:12], v[11:12], off
	s_mov_b64 s[34:35], 0
.LBB18_13:                              ;   in Loop: Header=BB18_10 Depth=1
	s_andn2_b64 vcc, exec, s[34:35]
	s_cbranch_vccnz .LBB18_15
; %bb.14:                               ;   in Loop: Header=BB18_10 Depth=1
	s_lshl_b64 s[30:31], s[30:31], 3
	s_waitcnt vmcnt(0)
	v_mov_b32_e32 v12, s31
	v_add_co_u32_e32 v11, vcc, s30, v15
	v_addc_co_u32_e32 v12, vcc, v16, v12, vcc
	global_load_dwordx2 v[11:12], v[11:12], off
.LBB18_15:                              ;   in Loop: Header=BB18_10 Depth=1
	s_or_b64 exec, exec, s[28:29]
	s_waitcnt vmcnt(0)
	ds_write_b64 v1, v[11:12]
	s_and_saveexec_b64 s[28:29], s[26:27]
	s_cbranch_execz .LBB18_9
; %bb.16:                               ;   in Loop: Header=BB18_10 Depth=1
	v_ashrrev_i32_e32 v11, 31, v10
	v_lshlrev_b64 v[11:12], 3, v[10:11]
	v_mov_b32_e32 v20, s15
	v_add_co_u32_e32 v11, vcc, s14, v11
	v_addc_co_u32_e32 v12, vcc, v20, v12, vcc
	global_load_dwordx2 v[11:12], v[11:12], off
	s_waitcnt vmcnt(0)
	ds_write_b64 v17, v[11:12]
	s_branch .LBB18_9
.LBB18_17:
	s_and_b64 s[0:1], s[22:23], s[0:1]
	s_and_b64 s[0:1], s[0:1], s[2:3]
	s_and_b64 exec, exec, s[0:1]
	s_cbranch_execz .LBB18_22
; %bb.18:
	s_load_dwordx2 s[0:1], s[4:5], 0x58
	v_cmp_neq_f64_e32 vcc, 0, v[2:3]
	v_mul_f64 v[4:5], v[4:5], v[8:9]
	s_waitcnt lgkmcnt(0)
	v_mul_lo_u32 v8, s1, v6
	v_mul_lo_u32 v9, s0, v7
	v_mad_u64_u32 v[6:7], s[0:1], s0, v6, 0
	v_mad_u64_u32 v[0:1], s[0:1], s6, 3, v[0:1]
	v_add3_u32 v7, v7, v9, v8
	v_lshlrev_b64 v[6:7], 3, v[6:7]
	v_ashrrev_i32_e32 v1, 31, v0
	s_and_saveexec_b64 s[0:1], vcc
	s_xor_b64 s[0:1], exec, s[0:1]
	s_cbranch_execz .LBB18_20
; %bb.19:
	v_mov_b32_e32 v8, s11
	v_add_co_u32_e32 v6, vcc, s10, v6
	v_lshlrev_b64 v[0:1], 3, v[0:1]
	v_addc_co_u32_e32 v7, vcc, v8, v7, vcc
	v_add_co_u32_e32 v0, vcc, v6, v0
	v_addc_co_u32_e32 v1, vcc, v7, v1, vcc
	global_load_dwordx2 v[6:7], v[0:1], off
	s_waitcnt vmcnt(0)
	v_fma_f64 v[2:3], v[2:3], v[6:7], v[4:5]
                                        ; implicit-def: $vgpr6_vgpr7
                                        ; implicit-def: $vgpr4_vgpr5
	global_store_dwordx2 v[0:1], v[2:3], off
                                        ; implicit-def: $vgpr0_vgpr1
.LBB18_20:
	s_andn2_saveexec_b64 s[0:1], s[0:1]
	s_cbranch_execz .LBB18_22
; %bb.21:
	v_mov_b32_e32 v2, s11
	v_add_co_u32_e32 v3, vcc, s10, v6
	v_lshlrev_b64 v[0:1], 3, v[0:1]
	v_addc_co_u32_e32 v2, vcc, v2, v7, vcc
	v_add_co_u32_e32 v0, vcc, v3, v0
	v_addc_co_u32_e32 v1, vcc, v2, v1, vcc
	global_store_dwordx2 v[0:1], v[4:5], off
.LBB18_22:
	s_endpgm
	.section	.rodata,"a",@progbits
	.p2align	6, 0x0
	.amdhsa_kernel _ZN9rocsparseL29gebsrmm_small_blockdim_kernelILi3ELi1ELi3ELi16EdEEv20rocsparse_direction_20rocsparse_operation_iiNS_24const_host_device_scalarIT3_EEPKiS7_PKS4_iiS9_lS5_PS4_l21rocsparse_index_base_b
		.amdhsa_group_segment_fixed_size 456
		.amdhsa_private_segment_fixed_size 0
		.amdhsa_kernarg_size 104
		.amdhsa_user_sgpr_count 6
		.amdhsa_user_sgpr_private_segment_buffer 1
		.amdhsa_user_sgpr_dispatch_ptr 0
		.amdhsa_user_sgpr_queue_ptr 0
		.amdhsa_user_sgpr_kernarg_segment_ptr 1
		.amdhsa_user_sgpr_dispatch_id 0
		.amdhsa_user_sgpr_flat_scratch_init 0
		.amdhsa_user_sgpr_private_segment_size 0
		.amdhsa_uses_dynamic_stack 0
		.amdhsa_system_sgpr_private_segment_wavefront_offset 0
		.amdhsa_system_sgpr_workgroup_id_x 1
		.amdhsa_system_sgpr_workgroup_id_y 1
		.amdhsa_system_sgpr_workgroup_id_z 0
		.amdhsa_system_sgpr_workgroup_info 0
		.amdhsa_system_vgpr_workitem_id 1
		.amdhsa_next_free_vgpr 22
		.amdhsa_next_free_sgpr 36
		.amdhsa_reserve_vcc 1
		.amdhsa_reserve_flat_scratch 0
		.amdhsa_float_round_mode_32 0
		.amdhsa_float_round_mode_16_64 0
		.amdhsa_float_denorm_mode_32 3
		.amdhsa_float_denorm_mode_16_64 3
		.amdhsa_dx10_clamp 1
		.amdhsa_ieee_mode 1
		.amdhsa_fp16_overflow 0
		.amdhsa_exception_fp_ieee_invalid_op 0
		.amdhsa_exception_fp_denorm_src 0
		.amdhsa_exception_fp_ieee_div_zero 0
		.amdhsa_exception_fp_ieee_overflow 0
		.amdhsa_exception_fp_ieee_underflow 0
		.amdhsa_exception_fp_ieee_inexact 0
		.amdhsa_exception_int_div_zero 0
	.end_amdhsa_kernel
	.section	.text._ZN9rocsparseL29gebsrmm_small_blockdim_kernelILi3ELi1ELi3ELi16EdEEv20rocsparse_direction_20rocsparse_operation_iiNS_24const_host_device_scalarIT3_EEPKiS7_PKS4_iiS9_lS5_PS4_l21rocsparse_index_base_b,"axG",@progbits,_ZN9rocsparseL29gebsrmm_small_blockdim_kernelILi3ELi1ELi3ELi16EdEEv20rocsparse_direction_20rocsparse_operation_iiNS_24const_host_device_scalarIT3_EEPKiS7_PKS4_iiS9_lS5_PS4_l21rocsparse_index_base_b,comdat
.Lfunc_end18:
	.size	_ZN9rocsparseL29gebsrmm_small_blockdim_kernelILi3ELi1ELi3ELi16EdEEv20rocsparse_direction_20rocsparse_operation_iiNS_24const_host_device_scalarIT3_EEPKiS7_PKS4_iiS9_lS5_PS4_l21rocsparse_index_base_b, .Lfunc_end18-_ZN9rocsparseL29gebsrmm_small_blockdim_kernelILi3ELi1ELi3ELi16EdEEv20rocsparse_direction_20rocsparse_operation_iiNS_24const_host_device_scalarIT3_EEPKiS7_PKS4_iiS9_lS5_PS4_l21rocsparse_index_base_b
                                        ; -- End function
	.set _ZN9rocsparseL29gebsrmm_small_blockdim_kernelILi3ELi1ELi3ELi16EdEEv20rocsparse_direction_20rocsparse_operation_iiNS_24const_host_device_scalarIT3_EEPKiS7_PKS4_iiS9_lS5_PS4_l21rocsparse_index_base_b.num_vgpr, 22
	.set _ZN9rocsparseL29gebsrmm_small_blockdim_kernelILi3ELi1ELi3ELi16EdEEv20rocsparse_direction_20rocsparse_operation_iiNS_24const_host_device_scalarIT3_EEPKiS7_PKS4_iiS9_lS5_PS4_l21rocsparse_index_base_b.num_agpr, 0
	.set _ZN9rocsparseL29gebsrmm_small_blockdim_kernelILi3ELi1ELi3ELi16EdEEv20rocsparse_direction_20rocsparse_operation_iiNS_24const_host_device_scalarIT3_EEPKiS7_PKS4_iiS9_lS5_PS4_l21rocsparse_index_base_b.numbered_sgpr, 36
	.set _ZN9rocsparseL29gebsrmm_small_blockdim_kernelILi3ELi1ELi3ELi16EdEEv20rocsparse_direction_20rocsparse_operation_iiNS_24const_host_device_scalarIT3_EEPKiS7_PKS4_iiS9_lS5_PS4_l21rocsparse_index_base_b.num_named_barrier, 0
	.set _ZN9rocsparseL29gebsrmm_small_blockdim_kernelILi3ELi1ELi3ELi16EdEEv20rocsparse_direction_20rocsparse_operation_iiNS_24const_host_device_scalarIT3_EEPKiS7_PKS4_iiS9_lS5_PS4_l21rocsparse_index_base_b.private_seg_size, 0
	.set _ZN9rocsparseL29gebsrmm_small_blockdim_kernelILi3ELi1ELi3ELi16EdEEv20rocsparse_direction_20rocsparse_operation_iiNS_24const_host_device_scalarIT3_EEPKiS7_PKS4_iiS9_lS5_PS4_l21rocsparse_index_base_b.uses_vcc, 1
	.set _ZN9rocsparseL29gebsrmm_small_blockdim_kernelILi3ELi1ELi3ELi16EdEEv20rocsparse_direction_20rocsparse_operation_iiNS_24const_host_device_scalarIT3_EEPKiS7_PKS4_iiS9_lS5_PS4_l21rocsparse_index_base_b.uses_flat_scratch, 0
	.set _ZN9rocsparseL29gebsrmm_small_blockdim_kernelILi3ELi1ELi3ELi16EdEEv20rocsparse_direction_20rocsparse_operation_iiNS_24const_host_device_scalarIT3_EEPKiS7_PKS4_iiS9_lS5_PS4_l21rocsparse_index_base_b.has_dyn_sized_stack, 0
	.set _ZN9rocsparseL29gebsrmm_small_blockdim_kernelILi3ELi1ELi3ELi16EdEEv20rocsparse_direction_20rocsparse_operation_iiNS_24const_host_device_scalarIT3_EEPKiS7_PKS4_iiS9_lS5_PS4_l21rocsparse_index_base_b.has_recursion, 0
	.set _ZN9rocsparseL29gebsrmm_small_blockdim_kernelILi3ELi1ELi3ELi16EdEEv20rocsparse_direction_20rocsparse_operation_iiNS_24const_host_device_scalarIT3_EEPKiS7_PKS4_iiS9_lS5_PS4_l21rocsparse_index_base_b.has_indirect_call, 0
	.section	.AMDGPU.csdata,"",@progbits
; Kernel info:
; codeLenInByte = 944
; TotalNumSgprs: 40
; NumVgprs: 22
; ScratchSize: 0
; MemoryBound: 0
; FloatMode: 240
; IeeeMode: 1
; LDSByteSize: 456 bytes/workgroup (compile time only)
; SGPRBlocks: 4
; VGPRBlocks: 5
; NumSGPRsForWavesPerEU: 40
; NumVGPRsForWavesPerEU: 22
; Occupancy: 10
; WaveLimiterHint : 1
; COMPUTE_PGM_RSRC2:SCRATCH_EN: 0
; COMPUTE_PGM_RSRC2:USER_SGPR: 6
; COMPUTE_PGM_RSRC2:TRAP_HANDLER: 0
; COMPUTE_PGM_RSRC2:TGID_X_EN: 1
; COMPUTE_PGM_RSRC2:TGID_Y_EN: 1
; COMPUTE_PGM_RSRC2:TGID_Z_EN: 0
; COMPUTE_PGM_RSRC2:TIDIG_COMP_CNT: 1
	.section	.text._ZN9rocsparseL29gebsrmm_small_blockdim_kernelILi3ELi2ELi3ELi16EdEEv20rocsparse_direction_20rocsparse_operation_iiNS_24const_host_device_scalarIT3_EEPKiS7_PKS4_iiS9_lS5_PS4_l21rocsparse_index_base_b,"axG",@progbits,_ZN9rocsparseL29gebsrmm_small_blockdim_kernelILi3ELi2ELi3ELi16EdEEv20rocsparse_direction_20rocsparse_operation_iiNS_24const_host_device_scalarIT3_EEPKiS7_PKS4_iiS9_lS5_PS4_l21rocsparse_index_base_b,comdat
	.globl	_ZN9rocsparseL29gebsrmm_small_blockdim_kernelILi3ELi2ELi3ELi16EdEEv20rocsparse_direction_20rocsparse_operation_iiNS_24const_host_device_scalarIT3_EEPKiS7_PKS4_iiS9_lS5_PS4_l21rocsparse_index_base_b ; -- Begin function _ZN9rocsparseL29gebsrmm_small_blockdim_kernelILi3ELi2ELi3ELi16EdEEv20rocsparse_direction_20rocsparse_operation_iiNS_24const_host_device_scalarIT3_EEPKiS7_PKS4_iiS9_lS5_PS4_l21rocsparse_index_base_b
	.p2align	8
	.type	_ZN9rocsparseL29gebsrmm_small_blockdim_kernelILi3ELi2ELi3ELi16EdEEv20rocsparse_direction_20rocsparse_operation_iiNS_24const_host_device_scalarIT3_EEPKiS7_PKS4_iiS9_lS5_PS4_l21rocsparse_index_base_b,@function
_ZN9rocsparseL29gebsrmm_small_blockdim_kernelILi3ELi2ELi3ELi16EdEEv20rocsparse_direction_20rocsparse_operation_iiNS_24const_host_device_scalarIT3_EEPKiS7_PKS4_iiS9_lS5_PS4_l21rocsparse_index_base_b: ; @_ZN9rocsparseL29gebsrmm_small_blockdim_kernelILi3ELi2ELi3ELi16EdEEv20rocsparse_direction_20rocsparse_operation_iiNS_24const_host_device_scalarIT3_EEPKiS7_PKS4_iiS9_lS5_PS4_l21rocsparse_index_base_b
; %bb.0:
	s_load_dwordx2 s[20:21], s[4:5], 0x60
	s_load_dwordx2 s[2:3], s[4:5], 0x10
	s_load_dwordx4 s[8:11], s[4:5], 0x40
	s_waitcnt lgkmcnt(0)
	s_bitcmp1_b32 s21, 0
	s_cselect_b64 s[12:13], -1, 0
	v_mov_b32_e32 v5, s3
	s_xor_b64 s[0:1], s[12:13], -1
	s_and_b64 vcc, exec, s[12:13]
	v_mov_b32_e32 v4, s2
	s_cbranch_vccnz .LBB19_2
; %bb.1:
	v_mov_b32_e32 v2, s2
	v_mov_b32_e32 v3, s3
	flat_load_dwordx2 v[4:5], v[2:3]
.LBB19_2:
	v_mov_b32_e32 v2, s10
	s_andn2_b64 vcc, exec, s[0:1]
	v_mov_b32_e32 v3, s11
	s_cbranch_vccnz .LBB19_4
; %bb.3:
	v_mov_b32_e32 v2, s10
	v_mov_b32_e32 v3, s11
	flat_load_dwordx2 v[2:3], v[2:3]
.LBB19_4:
	s_waitcnt vmcnt(0) lgkmcnt(0)
	v_cmp_neq_f64_e32 vcc, 0, v[4:5]
	v_cmp_neq_f64_e64 s[0:1], 1.0, v[2:3]
	s_or_b64 s[0:1], vcc, s[0:1]
	s_and_saveexec_b64 s[2:3], s[0:1]
	s_cbranch_execz .LBB19_22
; %bb.5:
	s_load_dwordx4 s[16:19], s[4:5], 0x0
	s_mov_b32 s21, 0
	s_waitcnt lgkmcnt(0)
	s_cmp_lt_i32 s6, s18
	s_cselect_b64 s[22:23], -1, 0
	s_cmp_ge_i32 s6, s18
	s_mov_b32 s18, 0
	s_cbranch_scc1 .LBB19_7
; %bb.6:
	s_load_dwordx2 s[2:3], s[4:5], 0x18
	s_mov_b32 s0, s7
	s_ashr_i32 s7, s6, 31
	s_lshl_b64 s[10:11], s[6:7], 2
	s_mov_b32 s7, s0
	s_waitcnt lgkmcnt(0)
	s_add_u32 s0, s2, s10
	s_addc_u32 s1, s3, s11
	s_load_dwordx2 s[2:3], s[0:1], 0x0
	s_waitcnt lgkmcnt(0)
	s_sub_i32 s18, s2, s20
	s_sub_i32 s21, s3, s20
.LBB19_7:
	s_load_dwordx2 s[10:11], s[4:5], 0x50
	v_lshl_add_u32 v6, s7, 4, v1
	v_mov_b32_e32 v8, 0
	v_ashrrev_i32_e32 v7, 31, v6
	v_cmp_gt_i32_e64 s[0:1], s19, v6
	v_mov_b32_e32 v9, 0
	s_cmp_ge_i32 s18, s21
	v_cmp_gt_u32_e64 s[2:3], 3, v0
	s_cbranch_scc1 .LBB19_17
; %bb.8:
	s_load_dwordx4 s[12:15], s[4:5], 0x20
	s_load_dwordx2 s[30:31], s[4:5], 0x38
	v_mul_lo_u32 v15, s9, v6
	v_mul_lo_u32 v16, s8, v7
	v_mad_u64_u32 v[10:11], s[28:29], s8, v6, 0
	v_cmp_gt_u32_e32 vcc, 2, v0
	v_lshlrev_b64 v[8:9], 3, v[6:7]
	s_and_b64 s[24:25], s[0:1], vcc
	v_cmp_gt_u32_e32 vcc, 2, v1
	s_and_b64 s[26:27], s[2:3], vcc
	s_waitcnt lgkmcnt(0)
	v_mov_b32_e32 v12, s31
	v_add_co_u32_e32 v13, vcc, s30, v8
	v_add3_u32 v11, v11, v16, v15
	v_addc_co_u32_e32 v14, vcc, v12, v9, vcc
	v_lshlrev_b64 v[8:9], 3, v[10:11]
	v_mov_b32_e32 v10, s31
	v_add_co_u32_e32 v8, vcc, s30, v8
	v_addc_co_u32_e32 v9, vcc, v10, v9, vcc
	v_lshlrev_b32_e32 v10, 3, v0
	s_cmpk_lg_i32 s17, 0x6f
	v_add_co_u32_e32 v16, vcc, v8, v10
	s_cselect_b64 s[28:29], -1, 0
	v_addc_co_u32_e32 v17, vcc, 0, v9, vcc
	s_cmp_eq_u32 s16, 0
	v_mad_u32_u24 v20, v1, 3, v0
	v_lshl_add_u32 v8, v0, 1, v1
	s_cselect_b64 vcc, -1, 0
	v_cndmask_b32_e32 v8, v20, v8, vcc
	v_mul_u32_u24_e32 v12, 3, v1
	v_add_u32_e32 v1, 0x180, v10
	s_ashr_i32 s19, s18, 31
	v_mad_u64_u32 v[10:11], s[30:31], s18, 6, v[8:9]
	s_lshl_b64 s[16:17], s[18:19], 2
	v_lshlrev_b32_e32 v15, 3, v20
	s_add_u32 s12, s12, s16
	v_mov_b32_e32 v8, 0
	v_add_u32_e32 v18, 0x180, v15
	v_lshlrev_b32_e32 v19, 3, v12
	v_mov_b32_e32 v9, 0
	s_addc_u32 s13, s13, s17
	s_branch .LBB19_10
.LBB19_9:                               ;   in Loop: Header=BB19_10 Depth=1
	s_or_b64 exec, exec, s[16:17]
	s_waitcnt lgkmcnt(0)
	; wave barrier
	ds_read2_b64 v[20:23], v19 offset1:1
	ds_read2_b64 v[24:27], v1 offset1:3
	s_add_i32 s18, s18, 1
	s_add_u32 s12, s12, 4
	s_addc_u32 s13, s13, 0
	s_cmp_ge_i32 s18, s21
	s_waitcnt lgkmcnt(0)
	v_fma_f64 v[8:9], v[24:25], v[20:21], v[8:9]
	v_add_u32_e32 v10, 6, v10
	; wave barrier
	v_fma_f64 v[8:9], v[26:27], v[22:23], v[8:9]
	s_cbranch_scc1 .LBB19_17
.LBB19_10:                              ; =>This Inner Loop Header: Depth=1
	v_mov_b32_e32 v11, 0
	v_mov_b32_e32 v12, 0
	s_and_saveexec_b64 s[16:17], s[24:25]
	s_cbranch_execz .LBB19_15
; %bb.11:                               ;   in Loop: Header=BB19_10 Depth=1
	s_load_dword s7, s[12:13], 0x0
	s_mov_b64 s[34:35], -1
	s_and_b64 vcc, exec, s[28:29]
                                        ; implicit-def: $vgpr11_vgpr12
	s_waitcnt lgkmcnt(0)
	s_sub_i32 s7, s7, s20
	s_lshl_b32 s30, s7, 1
	s_cbranch_vccz .LBB19_13
; %bb.12:                               ;   in Loop: Header=BB19_10 Depth=1
	v_or_b32_e32 v11, s30, v0
	v_mul_lo_u32 v20, s9, v11
	v_mad_u64_u32 v[11:12], s[34:35], s8, v11, 0
	s_ashr_i32 s7, s30, 31
	s_mul_i32 s7, s8, s7
	v_add3_u32 v12, v12, s7, v20
	v_lshlrev_b64 v[11:12], 3, v[11:12]
	s_mov_b64 s[34:35], 0
	v_add_co_u32_e32 v11, vcc, v13, v11
	v_addc_co_u32_e32 v12, vcc, v14, v12, vcc
	global_load_dwordx2 v[11:12], v[11:12], off
.LBB19_13:                              ;   in Loop: Header=BB19_10 Depth=1
	s_andn2_b64 vcc, exec, s[34:35]
	s_cbranch_vccnz .LBB19_15
; %bb.14:                               ;   in Loop: Header=BB19_10 Depth=1
	s_ashr_i32 s31, s30, 31
	s_lshl_b64 s[30:31], s[30:31], 3
	s_waitcnt vmcnt(0)
	v_mov_b32_e32 v12, s31
	v_add_co_u32_e32 v11, vcc, s30, v16
	v_addc_co_u32_e32 v12, vcc, v17, v12, vcc
	global_load_dwordx2 v[11:12], v[11:12], off
.LBB19_15:                              ;   in Loop: Header=BB19_10 Depth=1
	s_or_b64 exec, exec, s[16:17]
	s_waitcnt vmcnt(0)
	ds_write_b64 v15, v[11:12]
	s_and_saveexec_b64 s[16:17], s[26:27]
	s_cbranch_execz .LBB19_9
; %bb.16:                               ;   in Loop: Header=BB19_10 Depth=1
	v_ashrrev_i32_e32 v11, 31, v10
	v_lshlrev_b64 v[11:12], 3, v[10:11]
	v_mov_b32_e32 v20, s15
	v_add_co_u32_e32 v11, vcc, s14, v11
	v_addc_co_u32_e32 v12, vcc, v20, v12, vcc
	global_load_dwordx2 v[11:12], v[11:12], off
	s_waitcnt vmcnt(0)
	ds_write_b64 v18, v[11:12]
	s_branch .LBB19_9
.LBB19_17:
	s_and_b64 s[0:1], s[22:23], s[0:1]
	s_and_b64 s[0:1], s[0:1], s[2:3]
	s_and_b64 exec, exec, s[0:1]
	s_cbranch_execz .LBB19_22
; %bb.18:
	s_load_dwordx2 s[0:1], s[4:5], 0x58
	v_cmp_neq_f64_e32 vcc, 0, v[2:3]
	v_mul_f64 v[4:5], v[4:5], v[8:9]
	s_waitcnt lgkmcnt(0)
	v_mul_lo_u32 v8, s1, v6
	v_mul_lo_u32 v9, s0, v7
	v_mad_u64_u32 v[6:7], s[0:1], s0, v6, 0
	v_mad_u64_u32 v[0:1], s[0:1], s6, 3, v[0:1]
	v_add3_u32 v7, v7, v9, v8
	v_lshlrev_b64 v[6:7], 3, v[6:7]
	v_ashrrev_i32_e32 v1, 31, v0
	s_and_saveexec_b64 s[0:1], vcc
	s_xor_b64 s[0:1], exec, s[0:1]
	s_cbranch_execz .LBB19_20
; %bb.19:
	v_mov_b32_e32 v8, s11
	v_add_co_u32_e32 v6, vcc, s10, v6
	v_lshlrev_b64 v[0:1], 3, v[0:1]
	v_addc_co_u32_e32 v7, vcc, v8, v7, vcc
	v_add_co_u32_e32 v0, vcc, v6, v0
	v_addc_co_u32_e32 v1, vcc, v7, v1, vcc
	global_load_dwordx2 v[6:7], v[0:1], off
	s_waitcnt vmcnt(0)
	v_fma_f64 v[2:3], v[2:3], v[6:7], v[4:5]
                                        ; implicit-def: $vgpr6_vgpr7
                                        ; implicit-def: $vgpr4_vgpr5
	global_store_dwordx2 v[0:1], v[2:3], off
                                        ; implicit-def: $vgpr0_vgpr1
.LBB19_20:
	s_andn2_saveexec_b64 s[0:1], s[0:1]
	s_cbranch_execz .LBB19_22
; %bb.21:
	v_mov_b32_e32 v2, s11
	v_add_co_u32_e32 v3, vcc, s10, v6
	v_lshlrev_b64 v[0:1], 3, v[0:1]
	v_addc_co_u32_e32 v2, vcc, v2, v7, vcc
	v_add_co_u32_e32 v0, vcc, v3, v0
	v_addc_co_u32_e32 v1, vcc, v2, v1, vcc
	global_store_dwordx2 v[0:1], v[4:5], off
.LBB19_22:
	s_endpgm
	.section	.rodata,"a",@progbits
	.p2align	6, 0x0
	.amdhsa_kernel _ZN9rocsparseL29gebsrmm_small_blockdim_kernelILi3ELi2ELi3ELi16EdEEv20rocsparse_direction_20rocsparse_operation_iiNS_24const_host_device_scalarIT3_EEPKiS7_PKS4_iiS9_lS5_PS4_l21rocsparse_index_base_b
		.amdhsa_group_segment_fixed_size 456
		.amdhsa_private_segment_fixed_size 0
		.amdhsa_kernarg_size 104
		.amdhsa_user_sgpr_count 6
		.amdhsa_user_sgpr_private_segment_buffer 1
		.amdhsa_user_sgpr_dispatch_ptr 0
		.amdhsa_user_sgpr_queue_ptr 0
		.amdhsa_user_sgpr_kernarg_segment_ptr 1
		.amdhsa_user_sgpr_dispatch_id 0
		.amdhsa_user_sgpr_flat_scratch_init 0
		.amdhsa_user_sgpr_private_segment_size 0
		.amdhsa_uses_dynamic_stack 0
		.amdhsa_system_sgpr_private_segment_wavefront_offset 0
		.amdhsa_system_sgpr_workgroup_id_x 1
		.amdhsa_system_sgpr_workgroup_id_y 1
		.amdhsa_system_sgpr_workgroup_id_z 0
		.amdhsa_system_sgpr_workgroup_info 0
		.amdhsa_system_vgpr_workitem_id 1
		.amdhsa_next_free_vgpr 28
		.amdhsa_next_free_sgpr 36
		.amdhsa_reserve_vcc 1
		.amdhsa_reserve_flat_scratch 0
		.amdhsa_float_round_mode_32 0
		.amdhsa_float_round_mode_16_64 0
		.amdhsa_float_denorm_mode_32 3
		.amdhsa_float_denorm_mode_16_64 3
		.amdhsa_dx10_clamp 1
		.amdhsa_ieee_mode 1
		.amdhsa_fp16_overflow 0
		.amdhsa_exception_fp_ieee_invalid_op 0
		.amdhsa_exception_fp_denorm_src 0
		.amdhsa_exception_fp_ieee_div_zero 0
		.amdhsa_exception_fp_ieee_overflow 0
		.amdhsa_exception_fp_ieee_underflow 0
		.amdhsa_exception_fp_ieee_inexact 0
		.amdhsa_exception_int_div_zero 0
	.end_amdhsa_kernel
	.section	.text._ZN9rocsparseL29gebsrmm_small_blockdim_kernelILi3ELi2ELi3ELi16EdEEv20rocsparse_direction_20rocsparse_operation_iiNS_24const_host_device_scalarIT3_EEPKiS7_PKS4_iiS9_lS5_PS4_l21rocsparse_index_base_b,"axG",@progbits,_ZN9rocsparseL29gebsrmm_small_blockdim_kernelILi3ELi2ELi3ELi16EdEEv20rocsparse_direction_20rocsparse_operation_iiNS_24const_host_device_scalarIT3_EEPKiS7_PKS4_iiS9_lS5_PS4_l21rocsparse_index_base_b,comdat
.Lfunc_end19:
	.size	_ZN9rocsparseL29gebsrmm_small_blockdim_kernelILi3ELi2ELi3ELi16EdEEv20rocsparse_direction_20rocsparse_operation_iiNS_24const_host_device_scalarIT3_EEPKiS7_PKS4_iiS9_lS5_PS4_l21rocsparse_index_base_b, .Lfunc_end19-_ZN9rocsparseL29gebsrmm_small_blockdim_kernelILi3ELi2ELi3ELi16EdEEv20rocsparse_direction_20rocsparse_operation_iiNS_24const_host_device_scalarIT3_EEPKiS7_PKS4_iiS9_lS5_PS4_l21rocsparse_index_base_b
                                        ; -- End function
	.set _ZN9rocsparseL29gebsrmm_small_blockdim_kernelILi3ELi2ELi3ELi16EdEEv20rocsparse_direction_20rocsparse_operation_iiNS_24const_host_device_scalarIT3_EEPKiS7_PKS4_iiS9_lS5_PS4_l21rocsparse_index_base_b.num_vgpr, 28
	.set _ZN9rocsparseL29gebsrmm_small_blockdim_kernelILi3ELi2ELi3ELi16EdEEv20rocsparse_direction_20rocsparse_operation_iiNS_24const_host_device_scalarIT3_EEPKiS7_PKS4_iiS9_lS5_PS4_l21rocsparse_index_base_b.num_agpr, 0
	.set _ZN9rocsparseL29gebsrmm_small_blockdim_kernelILi3ELi2ELi3ELi16EdEEv20rocsparse_direction_20rocsparse_operation_iiNS_24const_host_device_scalarIT3_EEPKiS7_PKS4_iiS9_lS5_PS4_l21rocsparse_index_base_b.numbered_sgpr, 36
	.set _ZN9rocsparseL29gebsrmm_small_blockdim_kernelILi3ELi2ELi3ELi16EdEEv20rocsparse_direction_20rocsparse_operation_iiNS_24const_host_device_scalarIT3_EEPKiS7_PKS4_iiS9_lS5_PS4_l21rocsparse_index_base_b.num_named_barrier, 0
	.set _ZN9rocsparseL29gebsrmm_small_blockdim_kernelILi3ELi2ELi3ELi16EdEEv20rocsparse_direction_20rocsparse_operation_iiNS_24const_host_device_scalarIT3_EEPKiS7_PKS4_iiS9_lS5_PS4_l21rocsparse_index_base_b.private_seg_size, 0
	.set _ZN9rocsparseL29gebsrmm_small_blockdim_kernelILi3ELi2ELi3ELi16EdEEv20rocsparse_direction_20rocsparse_operation_iiNS_24const_host_device_scalarIT3_EEPKiS7_PKS4_iiS9_lS5_PS4_l21rocsparse_index_base_b.uses_vcc, 1
	.set _ZN9rocsparseL29gebsrmm_small_blockdim_kernelILi3ELi2ELi3ELi16EdEEv20rocsparse_direction_20rocsparse_operation_iiNS_24const_host_device_scalarIT3_EEPKiS7_PKS4_iiS9_lS5_PS4_l21rocsparse_index_base_b.uses_flat_scratch, 0
	.set _ZN9rocsparseL29gebsrmm_small_blockdim_kernelILi3ELi2ELi3ELi16EdEEv20rocsparse_direction_20rocsparse_operation_iiNS_24const_host_device_scalarIT3_EEPKiS7_PKS4_iiS9_lS5_PS4_l21rocsparse_index_base_b.has_dyn_sized_stack, 0
	.set _ZN9rocsparseL29gebsrmm_small_blockdim_kernelILi3ELi2ELi3ELi16EdEEv20rocsparse_direction_20rocsparse_operation_iiNS_24const_host_device_scalarIT3_EEPKiS7_PKS4_iiS9_lS5_PS4_l21rocsparse_index_base_b.has_recursion, 0
	.set _ZN9rocsparseL29gebsrmm_small_blockdim_kernelILi3ELi2ELi3ELi16EdEEv20rocsparse_direction_20rocsparse_operation_iiNS_24const_host_device_scalarIT3_EEPKiS7_PKS4_iiS9_lS5_PS4_l21rocsparse_index_base_b.has_indirect_call, 0
	.section	.AMDGPU.csdata,"",@progbits
; Kernel info:
; codeLenInByte = 996
; TotalNumSgprs: 40
; NumVgprs: 28
; ScratchSize: 0
; MemoryBound: 0
; FloatMode: 240
; IeeeMode: 1
; LDSByteSize: 456 bytes/workgroup (compile time only)
; SGPRBlocks: 4
; VGPRBlocks: 6
; NumSGPRsForWavesPerEU: 40
; NumVGPRsForWavesPerEU: 28
; Occupancy: 9
; WaveLimiterHint : 1
; COMPUTE_PGM_RSRC2:SCRATCH_EN: 0
; COMPUTE_PGM_RSRC2:USER_SGPR: 6
; COMPUTE_PGM_RSRC2:TRAP_HANDLER: 0
; COMPUTE_PGM_RSRC2:TGID_X_EN: 1
; COMPUTE_PGM_RSRC2:TGID_Y_EN: 1
; COMPUTE_PGM_RSRC2:TGID_Z_EN: 0
; COMPUTE_PGM_RSRC2:TIDIG_COMP_CNT: 1
	.section	.text._ZN9rocsparseL29gebsrmm_small_blockdim_kernelILi3ELi4ELi4ELi16EdEEv20rocsparse_direction_20rocsparse_operation_iiNS_24const_host_device_scalarIT3_EEPKiS7_PKS4_iiS9_lS5_PS4_l21rocsparse_index_base_b,"axG",@progbits,_ZN9rocsparseL29gebsrmm_small_blockdim_kernelILi3ELi4ELi4ELi16EdEEv20rocsparse_direction_20rocsparse_operation_iiNS_24const_host_device_scalarIT3_EEPKiS7_PKS4_iiS9_lS5_PS4_l21rocsparse_index_base_b,comdat
	.globl	_ZN9rocsparseL29gebsrmm_small_blockdim_kernelILi3ELi4ELi4ELi16EdEEv20rocsparse_direction_20rocsparse_operation_iiNS_24const_host_device_scalarIT3_EEPKiS7_PKS4_iiS9_lS5_PS4_l21rocsparse_index_base_b ; -- Begin function _ZN9rocsparseL29gebsrmm_small_blockdim_kernelILi3ELi4ELi4ELi16EdEEv20rocsparse_direction_20rocsparse_operation_iiNS_24const_host_device_scalarIT3_EEPKiS7_PKS4_iiS9_lS5_PS4_l21rocsparse_index_base_b
	.p2align	8
	.type	_ZN9rocsparseL29gebsrmm_small_blockdim_kernelILi3ELi4ELi4ELi16EdEEv20rocsparse_direction_20rocsparse_operation_iiNS_24const_host_device_scalarIT3_EEPKiS7_PKS4_iiS9_lS5_PS4_l21rocsparse_index_base_b,@function
_ZN9rocsparseL29gebsrmm_small_blockdim_kernelILi3ELi4ELi4ELi16EdEEv20rocsparse_direction_20rocsparse_operation_iiNS_24const_host_device_scalarIT3_EEPKiS7_PKS4_iiS9_lS5_PS4_l21rocsparse_index_base_b: ; @_ZN9rocsparseL29gebsrmm_small_blockdim_kernelILi3ELi4ELi4ELi16EdEEv20rocsparse_direction_20rocsparse_operation_iiNS_24const_host_device_scalarIT3_EEPKiS7_PKS4_iiS9_lS5_PS4_l21rocsparse_index_base_b
; %bb.0:
	s_load_dwordx2 s[20:21], s[4:5], 0x60
	s_load_dwordx2 s[2:3], s[4:5], 0x10
	s_load_dwordx4 s[8:11], s[4:5], 0x40
	s_waitcnt lgkmcnt(0)
	s_bitcmp1_b32 s21, 0
	s_cselect_b64 s[12:13], -1, 0
	v_mov_b32_e32 v5, s3
	s_xor_b64 s[0:1], s[12:13], -1
	s_and_b64 vcc, exec, s[12:13]
	v_mov_b32_e32 v4, s2
	s_cbranch_vccnz .LBB20_2
; %bb.1:
	v_mov_b32_e32 v2, s2
	v_mov_b32_e32 v3, s3
	flat_load_dwordx2 v[4:5], v[2:3]
.LBB20_2:
	v_mov_b32_e32 v2, s10
	s_andn2_b64 vcc, exec, s[0:1]
	v_mov_b32_e32 v3, s11
	s_cbranch_vccnz .LBB20_4
; %bb.3:
	v_mov_b32_e32 v2, s10
	v_mov_b32_e32 v3, s11
	flat_load_dwordx2 v[2:3], v[2:3]
.LBB20_4:
	s_waitcnt vmcnt(0) lgkmcnt(0)
	v_cmp_neq_f64_e32 vcc, 0, v[4:5]
	v_cmp_neq_f64_e64 s[0:1], 1.0, v[2:3]
	s_or_b64 s[0:1], vcc, s[0:1]
	s_and_saveexec_b64 s[2:3], s[0:1]
	s_cbranch_execz .LBB20_22
; %bb.5:
	s_load_dwordx4 s[16:19], s[4:5], 0x0
	s_mov_b32 s21, 0
	s_waitcnt lgkmcnt(0)
	s_cmp_lt_i32 s6, s18
	s_cselect_b64 s[22:23], -1, 0
	s_cmp_ge_i32 s6, s18
	s_mov_b32 s18, 0
	s_cbranch_scc1 .LBB20_7
; %bb.6:
	s_load_dwordx2 s[2:3], s[4:5], 0x18
	s_mov_b32 s0, s7
	s_ashr_i32 s7, s6, 31
	s_lshl_b64 s[10:11], s[6:7], 2
	s_mov_b32 s7, s0
	s_waitcnt lgkmcnt(0)
	s_add_u32 s0, s2, s10
	s_addc_u32 s1, s3, s11
	s_load_dwordx2 s[2:3], s[0:1], 0x0
	s_waitcnt lgkmcnt(0)
	s_sub_i32 s18, s2, s20
	s_sub_i32 s21, s3, s20
.LBB20_7:
	s_load_dwordx2 s[10:11], s[4:5], 0x50
	v_lshl_add_u32 v6, s7, 4, v1
	v_mov_b32_e32 v8, 0
	v_ashrrev_i32_e32 v7, 31, v6
	v_cmp_gt_i32_e64 s[0:1], s19, v6
	v_mov_b32_e32 v9, 0
	s_cmp_ge_i32 s18, s21
	v_cmp_gt_u32_e64 s[2:3], 3, v0
	s_cbranch_scc1 .LBB20_17
; %bb.8:
	s_load_dwordx4 s[12:15], s[4:5], 0x20
	s_load_dwordx2 s[30:31], s[4:5], 0x38
	v_mul_lo_u32 v15, s9, v6
	v_mul_lo_u32 v16, s8, v7
	v_mad_u64_u32 v[10:11], s[28:29], s8, v6, 0
	v_cmp_gt_u32_e32 vcc, 4, v0
	v_lshlrev_b64 v[8:9], 3, v[6:7]
	s_and_b64 s[24:25], s[0:1], vcc
	v_cmp_gt_u32_e32 vcc, 4, v1
	s_and_b64 s[26:27], s[2:3], vcc
	s_waitcnt lgkmcnt(0)
	v_mov_b32_e32 v12, s31
	v_add_co_u32_e32 v13, vcc, s30, v8
	v_add3_u32 v11, v11, v16, v15
	v_addc_co_u32_e32 v14, vcc, v12, v9, vcc
	v_lshlrev_b64 v[8:9], 3, v[10:11]
	v_mov_b32_e32 v10, s31
	v_add_co_u32_e32 v8, vcc, s30, v8
	v_addc_co_u32_e32 v9, vcc, v10, v9, vcc
	v_lshlrev_b32_e32 v10, 3, v0
	s_cmpk_lg_i32 s17, 0x6f
	v_add_co_u32_e32 v16, vcc, v8, v10
	v_lshl_add_u32 v12, v1, 2, v0
	s_cselect_b64 s[28:29], -1, 0
	v_addc_co_u32_e32 v17, vcc, 0, v9, vcc
	s_cmp_eq_u32 s16, 0
	v_sub_u32_e32 v8, v12, v1
	v_lshl_add_u32 v9, v0, 2, v1
	s_cselect_b64 vcc, -1, 0
	v_cndmask_b32_e32 v8, v8, v9, vcc
	v_add_u32_e32 v19, 0x200, v10
	s_ashr_i32 s19, s18, 31
	v_mad_u64_u32 v[10:11], s[30:31], s18, 12, v[8:9]
	s_lshl_b64 s[16:17], s[18:19], 2
	v_lshlrev_b32_e32 v15, 3, v12
	s_add_u32 s12, s12, s16
	v_mov_b32_e32 v8, 0
	v_add_u32_e32 v18, 0x200, v15
	v_lshlrev_b32_e32 v1, 5, v1
	v_mov_b32_e32 v9, 0
	s_addc_u32 s13, s13, s17
	s_branch .LBB20_10
.LBB20_9:                               ;   in Loop: Header=BB20_10 Depth=1
	s_or_b64 exec, exec, s[16:17]
	s_waitcnt lgkmcnt(0)
	; wave barrier
	ds_read2_b64 v[20:23], v19 offset1:4
	ds_read_b128 v[24:27], v1
	ds_read_b128 v[28:31], v1 offset:16
	s_add_i32 s18, s18, 1
	s_add_u32 s12, s12, 4
	s_addc_u32 s13, s13, 0
	s_waitcnt lgkmcnt(1)
	v_fma_f64 v[8:9], v[20:21], v[24:25], v[8:9]
	s_cmp_ge_i32 s18, s21
	v_add_u32_e32 v10, 12, v10
	v_fma_f64 v[8:9], v[22:23], v[26:27], v[8:9]
	ds_read2_b64 v[20:23], v19 offset0:8 offset1:12
	s_waitcnt lgkmcnt(0)
	; wave barrier
	v_fma_f64 v[8:9], v[20:21], v[28:29], v[8:9]
	v_fma_f64 v[8:9], v[22:23], v[30:31], v[8:9]
	s_cbranch_scc1 .LBB20_17
.LBB20_10:                              ; =>This Inner Loop Header: Depth=1
	v_mov_b32_e32 v11, 0
	v_mov_b32_e32 v12, 0
	s_and_saveexec_b64 s[16:17], s[24:25]
	s_cbranch_execz .LBB20_15
; %bb.11:                               ;   in Loop: Header=BB20_10 Depth=1
	s_load_dword s7, s[12:13], 0x0
	s_mov_b64 s[34:35], -1
	s_and_b64 vcc, exec, s[28:29]
                                        ; implicit-def: $vgpr11_vgpr12
	s_waitcnt lgkmcnt(0)
	s_sub_i32 s7, s7, s20
	s_lshl_b32 s30, s7, 2
	s_cbranch_vccz .LBB20_13
; %bb.12:                               ;   in Loop: Header=BB20_10 Depth=1
	v_or_b32_e32 v11, s30, v0
	v_mul_lo_u32 v20, s9, v11
	v_mad_u64_u32 v[11:12], s[34:35], s8, v11, 0
	s_ashr_i32 s7, s30, 31
	s_mul_i32 s7, s8, s7
	v_add3_u32 v12, v12, s7, v20
	v_lshlrev_b64 v[11:12], 3, v[11:12]
	s_mov_b64 s[34:35], 0
	v_add_co_u32_e32 v11, vcc, v13, v11
	v_addc_co_u32_e32 v12, vcc, v14, v12, vcc
	global_load_dwordx2 v[11:12], v[11:12], off
.LBB20_13:                              ;   in Loop: Header=BB20_10 Depth=1
	s_andn2_b64 vcc, exec, s[34:35]
	s_cbranch_vccnz .LBB20_15
; %bb.14:                               ;   in Loop: Header=BB20_10 Depth=1
	s_ashr_i32 s31, s30, 31
	s_lshl_b64 s[30:31], s[30:31], 3
	s_waitcnt vmcnt(0)
	v_mov_b32_e32 v12, s31
	v_add_co_u32_e32 v11, vcc, s30, v16
	v_addc_co_u32_e32 v12, vcc, v17, v12, vcc
	global_load_dwordx2 v[11:12], v[11:12], off
.LBB20_15:                              ;   in Loop: Header=BB20_10 Depth=1
	s_or_b64 exec, exec, s[16:17]
	s_waitcnt vmcnt(0)
	ds_write_b64 v15, v[11:12]
	s_and_saveexec_b64 s[16:17], s[26:27]
	s_cbranch_execz .LBB20_9
; %bb.16:                               ;   in Loop: Header=BB20_10 Depth=1
	v_ashrrev_i32_e32 v11, 31, v10
	v_lshlrev_b64 v[11:12], 3, v[10:11]
	v_mov_b32_e32 v20, s15
	v_add_co_u32_e32 v11, vcc, s14, v11
	v_addc_co_u32_e32 v12, vcc, v20, v12, vcc
	global_load_dwordx2 v[11:12], v[11:12], off
	s_waitcnt vmcnt(0)
	ds_write_b64 v18, v[11:12]
	s_branch .LBB20_9
.LBB20_17:
	s_and_b64 s[0:1], s[22:23], s[0:1]
	s_and_b64 s[0:1], s[0:1], s[2:3]
	s_and_b64 exec, exec, s[0:1]
	s_cbranch_execz .LBB20_22
; %bb.18:
	s_load_dwordx2 s[0:1], s[4:5], 0x58
	v_cmp_neq_f64_e32 vcc, 0, v[2:3]
	v_mul_f64 v[4:5], v[4:5], v[8:9]
	s_waitcnt lgkmcnt(0)
	v_mul_lo_u32 v8, s1, v6
	v_mul_lo_u32 v9, s0, v7
	v_mad_u64_u32 v[6:7], s[0:1], s0, v6, 0
	v_mad_u64_u32 v[0:1], s[0:1], s6, 3, v[0:1]
	v_add3_u32 v7, v7, v9, v8
	v_lshlrev_b64 v[6:7], 3, v[6:7]
	v_ashrrev_i32_e32 v1, 31, v0
	s_and_saveexec_b64 s[0:1], vcc
	s_xor_b64 s[0:1], exec, s[0:1]
	s_cbranch_execz .LBB20_20
; %bb.19:
	v_mov_b32_e32 v8, s11
	v_add_co_u32_e32 v6, vcc, s10, v6
	v_lshlrev_b64 v[0:1], 3, v[0:1]
	v_addc_co_u32_e32 v7, vcc, v8, v7, vcc
	v_add_co_u32_e32 v0, vcc, v6, v0
	v_addc_co_u32_e32 v1, vcc, v7, v1, vcc
	global_load_dwordx2 v[6:7], v[0:1], off
	s_waitcnt vmcnt(0)
	v_fma_f64 v[2:3], v[2:3], v[6:7], v[4:5]
                                        ; implicit-def: $vgpr6_vgpr7
                                        ; implicit-def: $vgpr4_vgpr5
	global_store_dwordx2 v[0:1], v[2:3], off
                                        ; implicit-def: $vgpr0_vgpr1
.LBB20_20:
	s_andn2_saveexec_b64 s[0:1], s[0:1]
	s_cbranch_execz .LBB20_22
; %bb.21:
	v_mov_b32_e32 v2, s11
	v_add_co_u32_e32 v3, vcc, s10, v6
	v_lshlrev_b64 v[0:1], 3, v[0:1]
	v_addc_co_u32_e32 v2, vcc, v2, v7, vcc
	v_add_co_u32_e32 v0, vcc, v3, v0
	v_addc_co_u32_e32 v1, vcc, v2, v1, vcc
	global_store_dwordx2 v[0:1], v[4:5], off
.LBB20_22:
	s_endpgm
	.section	.rodata,"a",@progbits
	.p2align	6, 0x0
	.amdhsa_kernel _ZN9rocsparseL29gebsrmm_small_blockdim_kernelILi3ELi4ELi4ELi16EdEEv20rocsparse_direction_20rocsparse_operation_iiNS_24const_host_device_scalarIT3_EEPKiS7_PKS4_iiS9_lS5_PS4_l21rocsparse_index_base_b
		.amdhsa_group_segment_fixed_size 640
		.amdhsa_private_segment_fixed_size 0
		.amdhsa_kernarg_size 104
		.amdhsa_user_sgpr_count 6
		.amdhsa_user_sgpr_private_segment_buffer 1
		.amdhsa_user_sgpr_dispatch_ptr 0
		.amdhsa_user_sgpr_queue_ptr 0
		.amdhsa_user_sgpr_kernarg_segment_ptr 1
		.amdhsa_user_sgpr_dispatch_id 0
		.amdhsa_user_sgpr_flat_scratch_init 0
		.amdhsa_user_sgpr_private_segment_size 0
		.amdhsa_uses_dynamic_stack 0
		.amdhsa_system_sgpr_private_segment_wavefront_offset 0
		.amdhsa_system_sgpr_workgroup_id_x 1
		.amdhsa_system_sgpr_workgroup_id_y 1
		.amdhsa_system_sgpr_workgroup_id_z 0
		.amdhsa_system_sgpr_workgroup_info 0
		.amdhsa_system_vgpr_workitem_id 1
		.amdhsa_next_free_vgpr 32
		.amdhsa_next_free_sgpr 36
		.amdhsa_reserve_vcc 1
		.amdhsa_reserve_flat_scratch 0
		.amdhsa_float_round_mode_32 0
		.amdhsa_float_round_mode_16_64 0
		.amdhsa_float_denorm_mode_32 3
		.amdhsa_float_denorm_mode_16_64 3
		.amdhsa_dx10_clamp 1
		.amdhsa_ieee_mode 1
		.amdhsa_fp16_overflow 0
		.amdhsa_exception_fp_ieee_invalid_op 0
		.amdhsa_exception_fp_denorm_src 0
		.amdhsa_exception_fp_ieee_div_zero 0
		.amdhsa_exception_fp_ieee_overflow 0
		.amdhsa_exception_fp_ieee_underflow 0
		.amdhsa_exception_fp_ieee_inexact 0
		.amdhsa_exception_int_div_zero 0
	.end_amdhsa_kernel
	.section	.text._ZN9rocsparseL29gebsrmm_small_blockdim_kernelILi3ELi4ELi4ELi16EdEEv20rocsparse_direction_20rocsparse_operation_iiNS_24const_host_device_scalarIT3_EEPKiS7_PKS4_iiS9_lS5_PS4_l21rocsparse_index_base_b,"axG",@progbits,_ZN9rocsparseL29gebsrmm_small_blockdim_kernelILi3ELi4ELi4ELi16EdEEv20rocsparse_direction_20rocsparse_operation_iiNS_24const_host_device_scalarIT3_EEPKiS7_PKS4_iiS9_lS5_PS4_l21rocsparse_index_base_b,comdat
.Lfunc_end20:
	.size	_ZN9rocsparseL29gebsrmm_small_blockdim_kernelILi3ELi4ELi4ELi16EdEEv20rocsparse_direction_20rocsparse_operation_iiNS_24const_host_device_scalarIT3_EEPKiS7_PKS4_iiS9_lS5_PS4_l21rocsparse_index_base_b, .Lfunc_end20-_ZN9rocsparseL29gebsrmm_small_blockdim_kernelILi3ELi4ELi4ELi16EdEEv20rocsparse_direction_20rocsparse_operation_iiNS_24const_host_device_scalarIT3_EEPKiS7_PKS4_iiS9_lS5_PS4_l21rocsparse_index_base_b
                                        ; -- End function
	.set _ZN9rocsparseL29gebsrmm_small_blockdim_kernelILi3ELi4ELi4ELi16EdEEv20rocsparse_direction_20rocsparse_operation_iiNS_24const_host_device_scalarIT3_EEPKiS7_PKS4_iiS9_lS5_PS4_l21rocsparse_index_base_b.num_vgpr, 32
	.set _ZN9rocsparseL29gebsrmm_small_blockdim_kernelILi3ELi4ELi4ELi16EdEEv20rocsparse_direction_20rocsparse_operation_iiNS_24const_host_device_scalarIT3_EEPKiS7_PKS4_iiS9_lS5_PS4_l21rocsparse_index_base_b.num_agpr, 0
	.set _ZN9rocsparseL29gebsrmm_small_blockdim_kernelILi3ELi4ELi4ELi16EdEEv20rocsparse_direction_20rocsparse_operation_iiNS_24const_host_device_scalarIT3_EEPKiS7_PKS4_iiS9_lS5_PS4_l21rocsparse_index_base_b.numbered_sgpr, 36
	.set _ZN9rocsparseL29gebsrmm_small_blockdim_kernelILi3ELi4ELi4ELi16EdEEv20rocsparse_direction_20rocsparse_operation_iiNS_24const_host_device_scalarIT3_EEPKiS7_PKS4_iiS9_lS5_PS4_l21rocsparse_index_base_b.num_named_barrier, 0
	.set _ZN9rocsparseL29gebsrmm_small_blockdim_kernelILi3ELi4ELi4ELi16EdEEv20rocsparse_direction_20rocsparse_operation_iiNS_24const_host_device_scalarIT3_EEPKiS7_PKS4_iiS9_lS5_PS4_l21rocsparse_index_base_b.private_seg_size, 0
	.set _ZN9rocsparseL29gebsrmm_small_blockdim_kernelILi3ELi4ELi4ELi16EdEEv20rocsparse_direction_20rocsparse_operation_iiNS_24const_host_device_scalarIT3_EEPKiS7_PKS4_iiS9_lS5_PS4_l21rocsparse_index_base_b.uses_vcc, 1
	.set _ZN9rocsparseL29gebsrmm_small_blockdim_kernelILi3ELi4ELi4ELi16EdEEv20rocsparse_direction_20rocsparse_operation_iiNS_24const_host_device_scalarIT3_EEPKiS7_PKS4_iiS9_lS5_PS4_l21rocsparse_index_base_b.uses_flat_scratch, 0
	.set _ZN9rocsparseL29gebsrmm_small_blockdim_kernelILi3ELi4ELi4ELi16EdEEv20rocsparse_direction_20rocsparse_operation_iiNS_24const_host_device_scalarIT3_EEPKiS7_PKS4_iiS9_lS5_PS4_l21rocsparse_index_base_b.has_dyn_sized_stack, 0
	.set _ZN9rocsparseL29gebsrmm_small_blockdim_kernelILi3ELi4ELi4ELi16EdEEv20rocsparse_direction_20rocsparse_operation_iiNS_24const_host_device_scalarIT3_EEPKiS7_PKS4_iiS9_lS5_PS4_l21rocsparse_index_base_b.has_recursion, 0
	.set _ZN9rocsparseL29gebsrmm_small_blockdim_kernelILi3ELi4ELi4ELi16EdEEv20rocsparse_direction_20rocsparse_operation_iiNS_24const_host_device_scalarIT3_EEPKiS7_PKS4_iiS9_lS5_PS4_l21rocsparse_index_base_b.has_indirect_call, 0
	.section	.AMDGPU.csdata,"",@progbits
; Kernel info:
; codeLenInByte = 1032
; TotalNumSgprs: 40
; NumVgprs: 32
; ScratchSize: 0
; MemoryBound: 0
; FloatMode: 240
; IeeeMode: 1
; LDSByteSize: 640 bytes/workgroup (compile time only)
; SGPRBlocks: 4
; VGPRBlocks: 7
; NumSGPRsForWavesPerEU: 40
; NumVGPRsForWavesPerEU: 32
; Occupancy: 8
; WaveLimiterHint : 1
; COMPUTE_PGM_RSRC2:SCRATCH_EN: 0
; COMPUTE_PGM_RSRC2:USER_SGPR: 6
; COMPUTE_PGM_RSRC2:TRAP_HANDLER: 0
; COMPUTE_PGM_RSRC2:TGID_X_EN: 1
; COMPUTE_PGM_RSRC2:TGID_Y_EN: 1
; COMPUTE_PGM_RSRC2:TGID_Z_EN: 0
; COMPUTE_PGM_RSRC2:TIDIG_COMP_CNT: 1
	.section	.text._ZN9rocsparseL29gebsrmm_small_blockdim_kernelILi4ELi1ELi4ELi16EdEEv20rocsparse_direction_20rocsparse_operation_iiNS_24const_host_device_scalarIT3_EEPKiS7_PKS4_iiS9_lS5_PS4_l21rocsparse_index_base_b,"axG",@progbits,_ZN9rocsparseL29gebsrmm_small_blockdim_kernelILi4ELi1ELi4ELi16EdEEv20rocsparse_direction_20rocsparse_operation_iiNS_24const_host_device_scalarIT3_EEPKiS7_PKS4_iiS9_lS5_PS4_l21rocsparse_index_base_b,comdat
	.globl	_ZN9rocsparseL29gebsrmm_small_blockdim_kernelILi4ELi1ELi4ELi16EdEEv20rocsparse_direction_20rocsparse_operation_iiNS_24const_host_device_scalarIT3_EEPKiS7_PKS4_iiS9_lS5_PS4_l21rocsparse_index_base_b ; -- Begin function _ZN9rocsparseL29gebsrmm_small_blockdim_kernelILi4ELi1ELi4ELi16EdEEv20rocsparse_direction_20rocsparse_operation_iiNS_24const_host_device_scalarIT3_EEPKiS7_PKS4_iiS9_lS5_PS4_l21rocsparse_index_base_b
	.p2align	8
	.type	_ZN9rocsparseL29gebsrmm_small_blockdim_kernelILi4ELi1ELi4ELi16EdEEv20rocsparse_direction_20rocsparse_operation_iiNS_24const_host_device_scalarIT3_EEPKiS7_PKS4_iiS9_lS5_PS4_l21rocsparse_index_base_b,@function
_ZN9rocsparseL29gebsrmm_small_blockdim_kernelILi4ELi1ELi4ELi16EdEEv20rocsparse_direction_20rocsparse_operation_iiNS_24const_host_device_scalarIT3_EEPKiS7_PKS4_iiS9_lS5_PS4_l21rocsparse_index_base_b: ; @_ZN9rocsparseL29gebsrmm_small_blockdim_kernelILi4ELi1ELi4ELi16EdEEv20rocsparse_direction_20rocsparse_operation_iiNS_24const_host_device_scalarIT3_EEPKiS7_PKS4_iiS9_lS5_PS4_l21rocsparse_index_base_b
; %bb.0:
	s_load_dwordx2 s[20:21], s[4:5], 0x60
	s_load_dwordx2 s[2:3], s[4:5], 0x10
	s_load_dwordx4 s[8:11], s[4:5], 0x40
	s_waitcnt lgkmcnt(0)
	s_bitcmp1_b32 s21, 0
	s_cselect_b64 s[12:13], -1, 0
	v_mov_b32_e32 v5, s3
	s_xor_b64 s[0:1], s[12:13], -1
	s_and_b64 vcc, exec, s[12:13]
	v_mov_b32_e32 v4, s2
	s_cbranch_vccnz .LBB21_2
; %bb.1:
	v_mov_b32_e32 v2, s2
	v_mov_b32_e32 v3, s3
	flat_load_dwordx2 v[4:5], v[2:3]
.LBB21_2:
	v_mov_b32_e32 v2, s10
	s_andn2_b64 vcc, exec, s[0:1]
	v_mov_b32_e32 v3, s11
	s_cbranch_vccnz .LBB21_4
; %bb.3:
	v_mov_b32_e32 v2, s10
	v_mov_b32_e32 v3, s11
	flat_load_dwordx2 v[2:3], v[2:3]
.LBB21_4:
	s_waitcnt vmcnt(0) lgkmcnt(0)
	v_cmp_neq_f64_e32 vcc, 0, v[4:5]
	v_cmp_neq_f64_e64 s[0:1], 1.0, v[2:3]
	s_or_b64 s[0:1], vcc, s[0:1]
	s_and_saveexec_b64 s[2:3], s[0:1]
	s_cbranch_execz .LBB21_22
; %bb.5:
	s_load_dwordx4 s[16:19], s[4:5], 0x4
	s_mov_b32 s21, 0
	s_mov_b32 s24, 0
	s_waitcnt lgkmcnt(0)
	s_cmp_lt_i32 s6, s17
	s_cselect_b64 s[22:23], -1, 0
	s_cmp_ge_i32 s6, s17
	s_cbranch_scc1 .LBB21_7
; %bb.6:
	s_load_dwordx2 s[2:3], s[4:5], 0x18
	s_mov_b32 s0, s7
	s_ashr_i32 s7, s6, 31
	s_lshl_b64 s[10:11], s[6:7], 2
	s_mov_b32 s7, s0
	s_waitcnt lgkmcnt(0)
	s_add_u32 s0, s2, s10
	s_addc_u32 s1, s3, s11
	s_load_dwordx2 s[2:3], s[0:1], 0x0
	s_waitcnt lgkmcnt(0)
	s_sub_i32 s24, s2, s20
	s_sub_i32 s21, s3, s20
.LBB21_7:
	s_load_dwordx2 s[10:11], s[4:5], 0x50
	v_lshl_add_u32 v6, s7, 4, v1
	v_mov_b32_e32 v8, 0
	v_ashrrev_i32_e32 v7, 31, v6
	v_cmp_gt_i32_e64 s[0:1], s18, v6
	v_mov_b32_e32 v9, 0
	s_cmp_ge_i32 s24, s21
	v_cmp_gt_u32_e64 s[2:3], 4, v0
	s_cbranch_scc1 .LBB21_17
; %bb.8:
	s_load_dwordx4 s[12:15], s[4:5], 0x20
	s_load_dwordx2 s[28:29], s[4:5], 0x38
	v_mul_lo_u32 v15, s9, v6
	v_mul_lo_u32 v16, s8, v7
	v_mad_u64_u32 v[10:11], s[30:31], s8, v6, 0
	v_cmp_eq_u32_e32 vcc, 0, v0
	v_lshlrev_b64 v[8:9], 3, v[6:7]
	s_and_b64 s[18:19], vcc, s[0:1]
	v_cmp_eq_u32_e32 vcc, 0, v1
	s_and_b64 s[26:27], s[2:3], vcc
	s_waitcnt lgkmcnt(0)
	v_mov_b32_e32 v12, s29
	v_add_co_u32_e32 v13, vcc, s28, v8
	v_add3_u32 v11, v11, v16, v15
	v_lshlrev_b32_e32 v8, 2, v1
	v_addc_co_u32_e32 v14, vcc, v12, v9, vcc
	v_add_lshl_u32 v15, v8, v0, 3
	s_cmpk_lg_i32 s16, 0x6f
	v_lshlrev_b64 v[8:9], 3, v[10:11]
	s_cselect_b64 s[16:17], -1, 0
	s_ashr_i32 s25, s24, 31
	v_mov_b32_e32 v10, s29
	v_add_co_u32_e32 v16, vcc, s28, v8
	v_mov_b32_e32 v8, 0x200
	s_lshl_b64 s[28:29], s[24:25], 2
	v_addc_co_u32_e32 v17, vcc, v10, v9, vcc
	v_lshl_or_b32 v19, v0, 3, v8
	s_add_u32 s12, s12, s28
	v_mov_b32_e32 v8, 0
	v_add_u32_e32 v18, 0x200, v15
	v_lshlrev_b32_e32 v1, 5, v1
	s_addc_u32 s13, s13, s29
	v_mov_b32_e32 v9, 0
	v_lshl_add_u32 v10, s24, 2, v0
	s_branch .LBB21_10
.LBB21_9:                               ;   in Loop: Header=BB21_10 Depth=1
	s_or_b64 exec, exec, s[28:29]
	s_waitcnt lgkmcnt(0)
	; wave barrier
	ds_read_b64 v[11:12], v19
	ds_read_b64 v[20:21], v1
	s_add_i32 s24, s24, 1
	s_add_u32 s12, s12, 4
	s_addc_u32 s13, s13, 0
	s_cmp_ge_i32 s24, s21
	s_waitcnt lgkmcnt(0)
	v_fma_f64 v[8:9], v[11:12], v[20:21], v[8:9]
	v_add_u32_e32 v10, 4, v10
	; wave barrier
	s_cbranch_scc1 .LBB21_17
.LBB21_10:                              ; =>This Inner Loop Header: Depth=1
	v_mov_b32_e32 v11, 0
	v_mov_b32_e32 v12, 0
	s_and_saveexec_b64 s[28:29], s[18:19]
	s_cbranch_execz .LBB21_15
; %bb.11:                               ;   in Loop: Header=BB21_10 Depth=1
	s_load_dword s7, s[12:13], 0x0
	s_mov_b64 s[34:35], -1
	s_and_b64 vcc, exec, s[16:17]
                                        ; implicit-def: $vgpr11_vgpr12
	s_waitcnt lgkmcnt(0)
	s_sub_i32 s30, s7, s20
	s_ashr_i32 s31, s30, 31
	s_cbranch_vccz .LBB21_13
; %bb.12:                               ;   in Loop: Header=BB21_10 Depth=1
	s_mul_i32 s7, s8, s31
	s_mul_hi_u32 s25, s8, s30
	s_add_i32 s7, s25, s7
	s_mul_i32 s25, s9, s30
	s_add_i32 s35, s7, s25
	s_mul_i32 s34, s8, s30
	s_lshl_b64 s[34:35], s[34:35], 3
	v_mov_b32_e32 v12, s35
	v_add_co_u32_e32 v11, vcc, s34, v13
	v_addc_co_u32_e32 v12, vcc, v14, v12, vcc
	global_load_dwordx2 v[11:12], v[11:12], off
	s_mov_b64 s[34:35], 0
.LBB21_13:                              ;   in Loop: Header=BB21_10 Depth=1
	s_andn2_b64 vcc, exec, s[34:35]
	s_cbranch_vccnz .LBB21_15
; %bb.14:                               ;   in Loop: Header=BB21_10 Depth=1
	s_lshl_b64 s[30:31], s[30:31], 3
	s_waitcnt vmcnt(0)
	v_mov_b32_e32 v12, s31
	v_add_co_u32_e32 v11, vcc, s30, v16
	v_addc_co_u32_e32 v12, vcc, v17, v12, vcc
	global_load_dwordx2 v[11:12], v[11:12], off
.LBB21_15:                              ;   in Loop: Header=BB21_10 Depth=1
	s_or_b64 exec, exec, s[28:29]
	s_waitcnt vmcnt(0)
	ds_write_b64 v15, v[11:12]
	s_and_saveexec_b64 s[28:29], s[26:27]
	s_cbranch_execz .LBB21_9
; %bb.16:                               ;   in Loop: Header=BB21_10 Depth=1
	v_ashrrev_i32_e32 v11, 31, v10
	v_lshlrev_b64 v[11:12], 3, v[10:11]
	v_mov_b32_e32 v20, s15
	v_add_co_u32_e32 v11, vcc, s14, v11
	v_addc_co_u32_e32 v12, vcc, v20, v12, vcc
	global_load_dwordx2 v[11:12], v[11:12], off
	s_waitcnt vmcnt(0)
	ds_write_b64 v18, v[11:12]
	s_branch .LBB21_9
.LBB21_17:
	s_and_b64 s[0:1], s[22:23], s[0:1]
	s_and_b64 s[0:1], s[0:1], s[2:3]
	s_and_b64 exec, exec, s[0:1]
	s_cbranch_execz .LBB21_22
; %bb.18:
	s_load_dwordx2 s[0:1], s[4:5], 0x58
	v_cmp_neq_f64_e32 vcc, 0, v[2:3]
	v_mul_f64 v[4:5], v[4:5], v[8:9]
	v_lshl_add_u32 v0, s6, 2, v0
	s_waitcnt lgkmcnt(0)
	v_mul_lo_u32 v1, s1, v6
	v_mul_lo_u32 v8, s0, v7
	v_mad_u64_u32 v[6:7], s[0:1], s0, v6, 0
	v_add3_u32 v7, v7, v8, v1
	v_lshlrev_b64 v[6:7], 3, v[6:7]
	v_ashrrev_i32_e32 v1, 31, v0
	s_and_saveexec_b64 s[0:1], vcc
	s_xor_b64 s[0:1], exec, s[0:1]
	s_cbranch_execz .LBB21_20
; %bb.19:
	v_mov_b32_e32 v8, s11
	v_add_co_u32_e32 v6, vcc, s10, v6
	v_lshlrev_b64 v[0:1], 3, v[0:1]
	v_addc_co_u32_e32 v7, vcc, v8, v7, vcc
	v_add_co_u32_e32 v0, vcc, v6, v0
	v_addc_co_u32_e32 v1, vcc, v7, v1, vcc
	global_load_dwordx2 v[6:7], v[0:1], off
	s_waitcnt vmcnt(0)
	v_fma_f64 v[2:3], v[2:3], v[6:7], v[4:5]
                                        ; implicit-def: $vgpr6_vgpr7
                                        ; implicit-def: $vgpr4_vgpr5
	global_store_dwordx2 v[0:1], v[2:3], off
                                        ; implicit-def: $vgpr0
.LBB21_20:
	s_andn2_saveexec_b64 s[0:1], s[0:1]
	s_cbranch_execz .LBB21_22
; %bb.21:
	v_mov_b32_e32 v2, s11
	v_add_co_u32_e32 v3, vcc, s10, v6
	v_lshlrev_b64 v[0:1], 3, v[0:1]
	v_addc_co_u32_e32 v2, vcc, v2, v7, vcc
	v_add_co_u32_e32 v0, vcc, v3, v0
	v_addc_co_u32_e32 v1, vcc, v2, v1, vcc
	global_store_dwordx2 v[0:1], v[4:5], off
.LBB21_22:
	s_endpgm
	.section	.rodata,"a",@progbits
	.p2align	6, 0x0
	.amdhsa_kernel _ZN9rocsparseL29gebsrmm_small_blockdim_kernelILi4ELi1ELi4ELi16EdEEv20rocsparse_direction_20rocsparse_operation_iiNS_24const_host_device_scalarIT3_EEPKiS7_PKS4_iiS9_lS5_PS4_l21rocsparse_index_base_b
		.amdhsa_group_segment_fixed_size 640
		.amdhsa_private_segment_fixed_size 0
		.amdhsa_kernarg_size 104
		.amdhsa_user_sgpr_count 6
		.amdhsa_user_sgpr_private_segment_buffer 1
		.amdhsa_user_sgpr_dispatch_ptr 0
		.amdhsa_user_sgpr_queue_ptr 0
		.amdhsa_user_sgpr_kernarg_segment_ptr 1
		.amdhsa_user_sgpr_dispatch_id 0
		.amdhsa_user_sgpr_flat_scratch_init 0
		.amdhsa_user_sgpr_private_segment_size 0
		.amdhsa_uses_dynamic_stack 0
		.amdhsa_system_sgpr_private_segment_wavefront_offset 0
		.amdhsa_system_sgpr_workgroup_id_x 1
		.amdhsa_system_sgpr_workgroup_id_y 1
		.amdhsa_system_sgpr_workgroup_id_z 0
		.amdhsa_system_sgpr_workgroup_info 0
		.amdhsa_system_vgpr_workitem_id 1
		.amdhsa_next_free_vgpr 22
		.amdhsa_next_free_sgpr 36
		.amdhsa_reserve_vcc 1
		.amdhsa_reserve_flat_scratch 0
		.amdhsa_float_round_mode_32 0
		.amdhsa_float_round_mode_16_64 0
		.amdhsa_float_denorm_mode_32 3
		.amdhsa_float_denorm_mode_16_64 3
		.amdhsa_dx10_clamp 1
		.amdhsa_ieee_mode 1
		.amdhsa_fp16_overflow 0
		.amdhsa_exception_fp_ieee_invalid_op 0
		.amdhsa_exception_fp_denorm_src 0
		.amdhsa_exception_fp_ieee_div_zero 0
		.amdhsa_exception_fp_ieee_overflow 0
		.amdhsa_exception_fp_ieee_underflow 0
		.amdhsa_exception_fp_ieee_inexact 0
		.amdhsa_exception_int_div_zero 0
	.end_amdhsa_kernel
	.section	.text._ZN9rocsparseL29gebsrmm_small_blockdim_kernelILi4ELi1ELi4ELi16EdEEv20rocsparse_direction_20rocsparse_operation_iiNS_24const_host_device_scalarIT3_EEPKiS7_PKS4_iiS9_lS5_PS4_l21rocsparse_index_base_b,"axG",@progbits,_ZN9rocsparseL29gebsrmm_small_blockdim_kernelILi4ELi1ELi4ELi16EdEEv20rocsparse_direction_20rocsparse_operation_iiNS_24const_host_device_scalarIT3_EEPKiS7_PKS4_iiS9_lS5_PS4_l21rocsparse_index_base_b,comdat
.Lfunc_end21:
	.size	_ZN9rocsparseL29gebsrmm_small_blockdim_kernelILi4ELi1ELi4ELi16EdEEv20rocsparse_direction_20rocsparse_operation_iiNS_24const_host_device_scalarIT3_EEPKiS7_PKS4_iiS9_lS5_PS4_l21rocsparse_index_base_b, .Lfunc_end21-_ZN9rocsparseL29gebsrmm_small_blockdim_kernelILi4ELi1ELi4ELi16EdEEv20rocsparse_direction_20rocsparse_operation_iiNS_24const_host_device_scalarIT3_EEPKiS7_PKS4_iiS9_lS5_PS4_l21rocsparse_index_base_b
                                        ; -- End function
	.set _ZN9rocsparseL29gebsrmm_small_blockdim_kernelILi4ELi1ELi4ELi16EdEEv20rocsparse_direction_20rocsparse_operation_iiNS_24const_host_device_scalarIT3_EEPKiS7_PKS4_iiS9_lS5_PS4_l21rocsparse_index_base_b.num_vgpr, 22
	.set _ZN9rocsparseL29gebsrmm_small_blockdim_kernelILi4ELi1ELi4ELi16EdEEv20rocsparse_direction_20rocsparse_operation_iiNS_24const_host_device_scalarIT3_EEPKiS7_PKS4_iiS9_lS5_PS4_l21rocsparse_index_base_b.num_agpr, 0
	.set _ZN9rocsparseL29gebsrmm_small_blockdim_kernelILi4ELi1ELi4ELi16EdEEv20rocsparse_direction_20rocsparse_operation_iiNS_24const_host_device_scalarIT3_EEPKiS7_PKS4_iiS9_lS5_PS4_l21rocsparse_index_base_b.numbered_sgpr, 36
	.set _ZN9rocsparseL29gebsrmm_small_blockdim_kernelILi4ELi1ELi4ELi16EdEEv20rocsparse_direction_20rocsparse_operation_iiNS_24const_host_device_scalarIT3_EEPKiS7_PKS4_iiS9_lS5_PS4_l21rocsparse_index_base_b.num_named_barrier, 0
	.set _ZN9rocsparseL29gebsrmm_small_blockdim_kernelILi4ELi1ELi4ELi16EdEEv20rocsparse_direction_20rocsparse_operation_iiNS_24const_host_device_scalarIT3_EEPKiS7_PKS4_iiS9_lS5_PS4_l21rocsparse_index_base_b.private_seg_size, 0
	.set _ZN9rocsparseL29gebsrmm_small_blockdim_kernelILi4ELi1ELi4ELi16EdEEv20rocsparse_direction_20rocsparse_operation_iiNS_24const_host_device_scalarIT3_EEPKiS7_PKS4_iiS9_lS5_PS4_l21rocsparse_index_base_b.uses_vcc, 1
	.set _ZN9rocsparseL29gebsrmm_small_blockdim_kernelILi4ELi1ELi4ELi16EdEEv20rocsparse_direction_20rocsparse_operation_iiNS_24const_host_device_scalarIT3_EEPKiS7_PKS4_iiS9_lS5_PS4_l21rocsparse_index_base_b.uses_flat_scratch, 0
	.set _ZN9rocsparseL29gebsrmm_small_blockdim_kernelILi4ELi1ELi4ELi16EdEEv20rocsparse_direction_20rocsparse_operation_iiNS_24const_host_device_scalarIT3_EEPKiS7_PKS4_iiS9_lS5_PS4_l21rocsparse_index_base_b.has_dyn_sized_stack, 0
	.set _ZN9rocsparseL29gebsrmm_small_blockdim_kernelILi4ELi1ELi4ELi16EdEEv20rocsparse_direction_20rocsparse_operation_iiNS_24const_host_device_scalarIT3_EEPKiS7_PKS4_iiS9_lS5_PS4_l21rocsparse_index_base_b.has_recursion, 0
	.set _ZN9rocsparseL29gebsrmm_small_blockdim_kernelILi4ELi1ELi4ELi16EdEEv20rocsparse_direction_20rocsparse_operation_iiNS_24const_host_device_scalarIT3_EEPKiS7_PKS4_iiS9_lS5_PS4_l21rocsparse_index_base_b.has_indirect_call, 0
	.section	.AMDGPU.csdata,"",@progbits
; Kernel info:
; codeLenInByte = 944
; TotalNumSgprs: 40
; NumVgprs: 22
; ScratchSize: 0
; MemoryBound: 0
; FloatMode: 240
; IeeeMode: 1
; LDSByteSize: 640 bytes/workgroup (compile time only)
; SGPRBlocks: 4
; VGPRBlocks: 5
; NumSGPRsForWavesPerEU: 40
; NumVGPRsForWavesPerEU: 22
; Occupancy: 10
; WaveLimiterHint : 1
; COMPUTE_PGM_RSRC2:SCRATCH_EN: 0
; COMPUTE_PGM_RSRC2:USER_SGPR: 6
; COMPUTE_PGM_RSRC2:TRAP_HANDLER: 0
; COMPUTE_PGM_RSRC2:TGID_X_EN: 1
; COMPUTE_PGM_RSRC2:TGID_Y_EN: 1
; COMPUTE_PGM_RSRC2:TGID_Z_EN: 0
; COMPUTE_PGM_RSRC2:TIDIG_COMP_CNT: 1
	.section	.text._ZN9rocsparseL29gebsrmm_small_blockdim_kernelILi4ELi2ELi4ELi16EdEEv20rocsparse_direction_20rocsparse_operation_iiNS_24const_host_device_scalarIT3_EEPKiS7_PKS4_iiS9_lS5_PS4_l21rocsparse_index_base_b,"axG",@progbits,_ZN9rocsparseL29gebsrmm_small_blockdim_kernelILi4ELi2ELi4ELi16EdEEv20rocsparse_direction_20rocsparse_operation_iiNS_24const_host_device_scalarIT3_EEPKiS7_PKS4_iiS9_lS5_PS4_l21rocsparse_index_base_b,comdat
	.globl	_ZN9rocsparseL29gebsrmm_small_blockdim_kernelILi4ELi2ELi4ELi16EdEEv20rocsparse_direction_20rocsparse_operation_iiNS_24const_host_device_scalarIT3_EEPKiS7_PKS4_iiS9_lS5_PS4_l21rocsparse_index_base_b ; -- Begin function _ZN9rocsparseL29gebsrmm_small_blockdim_kernelILi4ELi2ELi4ELi16EdEEv20rocsparse_direction_20rocsparse_operation_iiNS_24const_host_device_scalarIT3_EEPKiS7_PKS4_iiS9_lS5_PS4_l21rocsparse_index_base_b
	.p2align	8
	.type	_ZN9rocsparseL29gebsrmm_small_blockdim_kernelILi4ELi2ELi4ELi16EdEEv20rocsparse_direction_20rocsparse_operation_iiNS_24const_host_device_scalarIT3_EEPKiS7_PKS4_iiS9_lS5_PS4_l21rocsparse_index_base_b,@function
_ZN9rocsparseL29gebsrmm_small_blockdim_kernelILi4ELi2ELi4ELi16EdEEv20rocsparse_direction_20rocsparse_operation_iiNS_24const_host_device_scalarIT3_EEPKiS7_PKS4_iiS9_lS5_PS4_l21rocsparse_index_base_b: ; @_ZN9rocsparseL29gebsrmm_small_blockdim_kernelILi4ELi2ELi4ELi16EdEEv20rocsparse_direction_20rocsparse_operation_iiNS_24const_host_device_scalarIT3_EEPKiS7_PKS4_iiS9_lS5_PS4_l21rocsparse_index_base_b
; %bb.0:
	s_load_dwordx2 s[20:21], s[4:5], 0x60
	s_load_dwordx2 s[2:3], s[4:5], 0x10
	s_load_dwordx4 s[8:11], s[4:5], 0x40
	s_waitcnt lgkmcnt(0)
	s_bitcmp1_b32 s21, 0
	s_cselect_b64 s[12:13], -1, 0
	v_mov_b32_e32 v5, s3
	s_xor_b64 s[0:1], s[12:13], -1
	s_and_b64 vcc, exec, s[12:13]
	v_mov_b32_e32 v4, s2
	s_cbranch_vccnz .LBB22_2
; %bb.1:
	v_mov_b32_e32 v2, s2
	v_mov_b32_e32 v3, s3
	flat_load_dwordx2 v[4:5], v[2:3]
.LBB22_2:
	v_mov_b32_e32 v2, s10
	s_andn2_b64 vcc, exec, s[0:1]
	v_mov_b32_e32 v3, s11
	s_cbranch_vccnz .LBB22_4
; %bb.3:
	v_mov_b32_e32 v2, s10
	v_mov_b32_e32 v3, s11
	flat_load_dwordx2 v[2:3], v[2:3]
.LBB22_4:
	s_waitcnt vmcnt(0) lgkmcnt(0)
	v_cmp_neq_f64_e32 vcc, 0, v[4:5]
	v_cmp_neq_f64_e64 s[0:1], 1.0, v[2:3]
	s_or_b64 s[0:1], vcc, s[0:1]
	s_and_saveexec_b64 s[2:3], s[0:1]
	s_cbranch_execz .LBB22_22
; %bb.5:
	s_load_dwordx4 s[16:19], s[4:5], 0x0
	s_mov_b32 s21, 0
	s_waitcnt lgkmcnt(0)
	s_cmp_lt_i32 s6, s18
	s_cselect_b64 s[22:23], -1, 0
	s_cmp_ge_i32 s6, s18
	s_mov_b32 s18, 0
	s_cbranch_scc1 .LBB22_7
; %bb.6:
	s_load_dwordx2 s[2:3], s[4:5], 0x18
	s_mov_b32 s0, s7
	s_ashr_i32 s7, s6, 31
	s_lshl_b64 s[10:11], s[6:7], 2
	s_mov_b32 s7, s0
	s_waitcnt lgkmcnt(0)
	s_add_u32 s0, s2, s10
	s_addc_u32 s1, s3, s11
	s_load_dwordx2 s[2:3], s[0:1], 0x0
	s_waitcnt lgkmcnt(0)
	s_sub_i32 s18, s2, s20
	s_sub_i32 s21, s3, s20
.LBB22_7:
	s_load_dwordx2 s[10:11], s[4:5], 0x50
	v_lshl_add_u32 v6, s7, 4, v1
	v_mov_b32_e32 v8, 0
	v_ashrrev_i32_e32 v7, 31, v6
	v_cmp_gt_i32_e64 s[0:1], s19, v6
	v_mov_b32_e32 v9, 0
	s_cmp_ge_i32 s18, s21
	v_cmp_gt_u32_e64 s[2:3], 4, v0
	s_cbranch_scc1 .LBB22_17
; %bb.8:
	s_load_dwordx4 s[12:15], s[4:5], 0x20
	s_load_dwordx2 s[30:31], s[4:5], 0x38
	v_mul_lo_u32 v15, s9, v6
	v_mul_lo_u32 v16, s8, v7
	v_mad_u64_u32 v[10:11], s[28:29], s8, v6, 0
	v_cmp_gt_u32_e32 vcc, 2, v0
	v_lshlrev_b64 v[8:9], 3, v[6:7]
	s_and_b64 s[24:25], s[0:1], vcc
	v_cmp_gt_u32_e32 vcc, 2, v1
	s_and_b64 s[26:27], s[2:3], vcc
	s_waitcnt lgkmcnt(0)
	v_mov_b32_e32 v12, s31
	v_add_co_u32_e32 v13, vcc, s30, v8
	v_add3_u32 v11, v11, v16, v15
	v_addc_co_u32_e32 v14, vcc, v12, v9, vcc
	v_lshlrev_b64 v[8:9], 3, v[10:11]
	v_mov_b32_e32 v10, s31
	v_add_co_u32_e32 v8, vcc, s30, v8
	v_addc_co_u32_e32 v9, vcc, v10, v9, vcc
	v_lshlrev_b32_e32 v10, 3, v0
	s_cmpk_lg_i32 s17, 0x6f
	v_add_co_u32_e32 v16, vcc, v8, v10
	s_cselect_b64 s[28:29], -1, 0
	v_addc_co_u32_e32 v17, vcc, 0, v9, vcc
	s_cmp_eq_u32 s16, 0
	s_cselect_b64 vcc, -1, 0
	s_ashr_i32 s19, s18, 31
	v_lshl_add_u32 v12, v1, 2, v0
	v_lshl_add_u32 v8, v0, 1, v1
	s_lshl_b64 s[16:17], s[18:19], 2
	v_lshlrev_b32_e32 v15, 3, v12
	v_add_u32_e32 v19, 0x200, v10
	v_cndmask_b32_e32 v10, v12, v8, vcc
	s_add_u32 s12, s12, s16
	v_mov_b32_e32 v8, 0
	v_add_u32_e32 v18, 0x200, v15
	v_lshlrev_b32_e32 v1, 5, v1
	s_addc_u32 s13, s13, s17
	v_mov_b32_e32 v9, 0
	v_lshl_add_u32 v10, s18, 3, v10
	s_branch .LBB22_10
.LBB22_9:                               ;   in Loop: Header=BB22_10 Depth=1
	s_or_b64 exec, exec, s[16:17]
	s_waitcnt lgkmcnt(0)
	; wave barrier
	ds_read_b128 v[20:23], v1
	ds_read2_b64 v[24:27], v19 offset1:4
	s_add_i32 s18, s18, 1
	s_add_u32 s12, s12, 4
	s_addc_u32 s13, s13, 0
	s_cmp_ge_i32 s18, s21
	s_waitcnt lgkmcnt(0)
	v_fma_f64 v[8:9], v[24:25], v[20:21], v[8:9]
	v_add_u32_e32 v10, 8, v10
	; wave barrier
	v_fma_f64 v[8:9], v[26:27], v[22:23], v[8:9]
	s_cbranch_scc1 .LBB22_17
.LBB22_10:                              ; =>This Inner Loop Header: Depth=1
	v_mov_b32_e32 v11, 0
	v_mov_b32_e32 v12, 0
	s_and_saveexec_b64 s[16:17], s[24:25]
	s_cbranch_execz .LBB22_15
; %bb.11:                               ;   in Loop: Header=BB22_10 Depth=1
	s_load_dword s7, s[12:13], 0x0
	s_mov_b64 s[34:35], -1
	s_and_b64 vcc, exec, s[28:29]
                                        ; implicit-def: $vgpr11_vgpr12
	s_waitcnt lgkmcnt(0)
	s_sub_i32 s7, s7, s20
	s_lshl_b32 s30, s7, 1
	s_cbranch_vccz .LBB22_13
; %bb.12:                               ;   in Loop: Header=BB22_10 Depth=1
	v_or_b32_e32 v11, s30, v0
	v_mul_lo_u32 v20, s9, v11
	v_mad_u64_u32 v[11:12], s[34:35], s8, v11, 0
	s_ashr_i32 s7, s30, 31
	s_mul_i32 s7, s8, s7
	v_add3_u32 v12, v12, s7, v20
	v_lshlrev_b64 v[11:12], 3, v[11:12]
	s_mov_b64 s[34:35], 0
	v_add_co_u32_e32 v11, vcc, v13, v11
	v_addc_co_u32_e32 v12, vcc, v14, v12, vcc
	global_load_dwordx2 v[11:12], v[11:12], off
.LBB22_13:                              ;   in Loop: Header=BB22_10 Depth=1
	s_andn2_b64 vcc, exec, s[34:35]
	s_cbranch_vccnz .LBB22_15
; %bb.14:                               ;   in Loop: Header=BB22_10 Depth=1
	s_ashr_i32 s31, s30, 31
	s_lshl_b64 s[30:31], s[30:31], 3
	s_waitcnt vmcnt(0)
	v_mov_b32_e32 v12, s31
	v_add_co_u32_e32 v11, vcc, s30, v16
	v_addc_co_u32_e32 v12, vcc, v17, v12, vcc
	global_load_dwordx2 v[11:12], v[11:12], off
.LBB22_15:                              ;   in Loop: Header=BB22_10 Depth=1
	s_or_b64 exec, exec, s[16:17]
	s_waitcnt vmcnt(0)
	ds_write_b64 v15, v[11:12]
	s_and_saveexec_b64 s[16:17], s[26:27]
	s_cbranch_execz .LBB22_9
; %bb.16:                               ;   in Loop: Header=BB22_10 Depth=1
	v_ashrrev_i32_e32 v11, 31, v10
	v_lshlrev_b64 v[11:12], 3, v[10:11]
	v_mov_b32_e32 v20, s15
	v_add_co_u32_e32 v11, vcc, s14, v11
	v_addc_co_u32_e32 v12, vcc, v20, v12, vcc
	global_load_dwordx2 v[11:12], v[11:12], off
	s_waitcnt vmcnt(0)
	ds_write_b64 v18, v[11:12]
	s_branch .LBB22_9
.LBB22_17:
	s_and_b64 s[0:1], s[22:23], s[0:1]
	s_and_b64 s[0:1], s[0:1], s[2:3]
	s_and_b64 exec, exec, s[0:1]
	s_cbranch_execz .LBB22_22
; %bb.18:
	s_load_dwordx2 s[0:1], s[4:5], 0x58
	v_cmp_neq_f64_e32 vcc, 0, v[2:3]
	v_mul_f64 v[4:5], v[4:5], v[8:9]
	v_lshl_add_u32 v0, s6, 2, v0
	s_waitcnt lgkmcnt(0)
	v_mul_lo_u32 v1, s1, v6
	v_mul_lo_u32 v8, s0, v7
	v_mad_u64_u32 v[6:7], s[0:1], s0, v6, 0
	v_add3_u32 v7, v7, v8, v1
	v_lshlrev_b64 v[6:7], 3, v[6:7]
	v_ashrrev_i32_e32 v1, 31, v0
	s_and_saveexec_b64 s[0:1], vcc
	s_xor_b64 s[0:1], exec, s[0:1]
	s_cbranch_execz .LBB22_20
; %bb.19:
	v_mov_b32_e32 v8, s11
	v_add_co_u32_e32 v6, vcc, s10, v6
	v_lshlrev_b64 v[0:1], 3, v[0:1]
	v_addc_co_u32_e32 v7, vcc, v8, v7, vcc
	v_add_co_u32_e32 v0, vcc, v6, v0
	v_addc_co_u32_e32 v1, vcc, v7, v1, vcc
	global_load_dwordx2 v[6:7], v[0:1], off
	s_waitcnt vmcnt(0)
	v_fma_f64 v[2:3], v[2:3], v[6:7], v[4:5]
                                        ; implicit-def: $vgpr6_vgpr7
                                        ; implicit-def: $vgpr4_vgpr5
	global_store_dwordx2 v[0:1], v[2:3], off
                                        ; implicit-def: $vgpr0
.LBB22_20:
	s_andn2_saveexec_b64 s[0:1], s[0:1]
	s_cbranch_execz .LBB22_22
; %bb.21:
	v_mov_b32_e32 v2, s11
	v_add_co_u32_e32 v3, vcc, s10, v6
	v_lshlrev_b64 v[0:1], 3, v[0:1]
	v_addc_co_u32_e32 v2, vcc, v2, v7, vcc
	v_add_co_u32_e32 v0, vcc, v3, v0
	v_addc_co_u32_e32 v1, vcc, v2, v1, vcc
	global_store_dwordx2 v[0:1], v[4:5], off
.LBB22_22:
	s_endpgm
	.section	.rodata,"a",@progbits
	.p2align	6, 0x0
	.amdhsa_kernel _ZN9rocsparseL29gebsrmm_small_blockdim_kernelILi4ELi2ELi4ELi16EdEEv20rocsparse_direction_20rocsparse_operation_iiNS_24const_host_device_scalarIT3_EEPKiS7_PKS4_iiS9_lS5_PS4_l21rocsparse_index_base_b
		.amdhsa_group_segment_fixed_size 640
		.amdhsa_private_segment_fixed_size 0
		.amdhsa_kernarg_size 104
		.amdhsa_user_sgpr_count 6
		.amdhsa_user_sgpr_private_segment_buffer 1
		.amdhsa_user_sgpr_dispatch_ptr 0
		.amdhsa_user_sgpr_queue_ptr 0
		.amdhsa_user_sgpr_kernarg_segment_ptr 1
		.amdhsa_user_sgpr_dispatch_id 0
		.amdhsa_user_sgpr_flat_scratch_init 0
		.amdhsa_user_sgpr_private_segment_size 0
		.amdhsa_uses_dynamic_stack 0
		.amdhsa_system_sgpr_private_segment_wavefront_offset 0
		.amdhsa_system_sgpr_workgroup_id_x 1
		.amdhsa_system_sgpr_workgroup_id_y 1
		.amdhsa_system_sgpr_workgroup_id_z 0
		.amdhsa_system_sgpr_workgroup_info 0
		.amdhsa_system_vgpr_workitem_id 1
		.amdhsa_next_free_vgpr 28
		.amdhsa_next_free_sgpr 36
		.amdhsa_reserve_vcc 1
		.amdhsa_reserve_flat_scratch 0
		.amdhsa_float_round_mode_32 0
		.amdhsa_float_round_mode_16_64 0
		.amdhsa_float_denorm_mode_32 3
		.amdhsa_float_denorm_mode_16_64 3
		.amdhsa_dx10_clamp 1
		.amdhsa_ieee_mode 1
		.amdhsa_fp16_overflow 0
		.amdhsa_exception_fp_ieee_invalid_op 0
		.amdhsa_exception_fp_denorm_src 0
		.amdhsa_exception_fp_ieee_div_zero 0
		.amdhsa_exception_fp_ieee_overflow 0
		.amdhsa_exception_fp_ieee_underflow 0
		.amdhsa_exception_fp_ieee_inexact 0
		.amdhsa_exception_int_div_zero 0
	.end_amdhsa_kernel
	.section	.text._ZN9rocsparseL29gebsrmm_small_blockdim_kernelILi4ELi2ELi4ELi16EdEEv20rocsparse_direction_20rocsparse_operation_iiNS_24const_host_device_scalarIT3_EEPKiS7_PKS4_iiS9_lS5_PS4_l21rocsparse_index_base_b,"axG",@progbits,_ZN9rocsparseL29gebsrmm_small_blockdim_kernelILi4ELi2ELi4ELi16EdEEv20rocsparse_direction_20rocsparse_operation_iiNS_24const_host_device_scalarIT3_EEPKiS7_PKS4_iiS9_lS5_PS4_l21rocsparse_index_base_b,comdat
.Lfunc_end22:
	.size	_ZN9rocsparseL29gebsrmm_small_blockdim_kernelILi4ELi2ELi4ELi16EdEEv20rocsparse_direction_20rocsparse_operation_iiNS_24const_host_device_scalarIT3_EEPKiS7_PKS4_iiS9_lS5_PS4_l21rocsparse_index_base_b, .Lfunc_end22-_ZN9rocsparseL29gebsrmm_small_blockdim_kernelILi4ELi2ELi4ELi16EdEEv20rocsparse_direction_20rocsparse_operation_iiNS_24const_host_device_scalarIT3_EEPKiS7_PKS4_iiS9_lS5_PS4_l21rocsparse_index_base_b
                                        ; -- End function
	.set _ZN9rocsparseL29gebsrmm_small_blockdim_kernelILi4ELi2ELi4ELi16EdEEv20rocsparse_direction_20rocsparse_operation_iiNS_24const_host_device_scalarIT3_EEPKiS7_PKS4_iiS9_lS5_PS4_l21rocsparse_index_base_b.num_vgpr, 28
	.set _ZN9rocsparseL29gebsrmm_small_blockdim_kernelILi4ELi2ELi4ELi16EdEEv20rocsparse_direction_20rocsparse_operation_iiNS_24const_host_device_scalarIT3_EEPKiS7_PKS4_iiS9_lS5_PS4_l21rocsparse_index_base_b.num_agpr, 0
	.set _ZN9rocsparseL29gebsrmm_small_blockdim_kernelILi4ELi2ELi4ELi16EdEEv20rocsparse_direction_20rocsparse_operation_iiNS_24const_host_device_scalarIT3_EEPKiS7_PKS4_iiS9_lS5_PS4_l21rocsparse_index_base_b.numbered_sgpr, 36
	.set _ZN9rocsparseL29gebsrmm_small_blockdim_kernelILi4ELi2ELi4ELi16EdEEv20rocsparse_direction_20rocsparse_operation_iiNS_24const_host_device_scalarIT3_EEPKiS7_PKS4_iiS9_lS5_PS4_l21rocsparse_index_base_b.num_named_barrier, 0
	.set _ZN9rocsparseL29gebsrmm_small_blockdim_kernelILi4ELi2ELi4ELi16EdEEv20rocsparse_direction_20rocsparse_operation_iiNS_24const_host_device_scalarIT3_EEPKiS7_PKS4_iiS9_lS5_PS4_l21rocsparse_index_base_b.private_seg_size, 0
	.set _ZN9rocsparseL29gebsrmm_small_blockdim_kernelILi4ELi2ELi4ELi16EdEEv20rocsparse_direction_20rocsparse_operation_iiNS_24const_host_device_scalarIT3_EEPKiS7_PKS4_iiS9_lS5_PS4_l21rocsparse_index_base_b.uses_vcc, 1
	.set _ZN9rocsparseL29gebsrmm_small_blockdim_kernelILi4ELi2ELi4ELi16EdEEv20rocsparse_direction_20rocsparse_operation_iiNS_24const_host_device_scalarIT3_EEPKiS7_PKS4_iiS9_lS5_PS4_l21rocsparse_index_base_b.uses_flat_scratch, 0
	.set _ZN9rocsparseL29gebsrmm_small_blockdim_kernelILi4ELi2ELi4ELi16EdEEv20rocsparse_direction_20rocsparse_operation_iiNS_24const_host_device_scalarIT3_EEPKiS7_PKS4_iiS9_lS5_PS4_l21rocsparse_index_base_b.has_dyn_sized_stack, 0
	.set _ZN9rocsparseL29gebsrmm_small_blockdim_kernelILi4ELi2ELi4ELi16EdEEv20rocsparse_direction_20rocsparse_operation_iiNS_24const_host_device_scalarIT3_EEPKiS7_PKS4_iiS9_lS5_PS4_l21rocsparse_index_base_b.has_recursion, 0
	.set _ZN9rocsparseL29gebsrmm_small_blockdim_kernelILi4ELi2ELi4ELi16EdEEv20rocsparse_direction_20rocsparse_operation_iiNS_24const_host_device_scalarIT3_EEPKiS7_PKS4_iiS9_lS5_PS4_l21rocsparse_index_base_b.has_indirect_call, 0
	.section	.AMDGPU.csdata,"",@progbits
; Kernel info:
; codeLenInByte = 992
; TotalNumSgprs: 40
; NumVgprs: 28
; ScratchSize: 0
; MemoryBound: 0
; FloatMode: 240
; IeeeMode: 1
; LDSByteSize: 640 bytes/workgroup (compile time only)
; SGPRBlocks: 4
; VGPRBlocks: 6
; NumSGPRsForWavesPerEU: 40
; NumVGPRsForWavesPerEU: 28
; Occupancy: 9
; WaveLimiterHint : 1
; COMPUTE_PGM_RSRC2:SCRATCH_EN: 0
; COMPUTE_PGM_RSRC2:USER_SGPR: 6
; COMPUTE_PGM_RSRC2:TRAP_HANDLER: 0
; COMPUTE_PGM_RSRC2:TGID_X_EN: 1
; COMPUTE_PGM_RSRC2:TGID_Y_EN: 1
; COMPUTE_PGM_RSRC2:TGID_Z_EN: 0
; COMPUTE_PGM_RSRC2:TIDIG_COMP_CNT: 1
	.section	.text._ZN9rocsparseL29gebsrmm_small_blockdim_kernelILi4ELi3ELi4ELi16EdEEv20rocsparse_direction_20rocsparse_operation_iiNS_24const_host_device_scalarIT3_EEPKiS7_PKS4_iiS9_lS5_PS4_l21rocsparse_index_base_b,"axG",@progbits,_ZN9rocsparseL29gebsrmm_small_blockdim_kernelILi4ELi3ELi4ELi16EdEEv20rocsparse_direction_20rocsparse_operation_iiNS_24const_host_device_scalarIT3_EEPKiS7_PKS4_iiS9_lS5_PS4_l21rocsparse_index_base_b,comdat
	.globl	_ZN9rocsparseL29gebsrmm_small_blockdim_kernelILi4ELi3ELi4ELi16EdEEv20rocsparse_direction_20rocsparse_operation_iiNS_24const_host_device_scalarIT3_EEPKiS7_PKS4_iiS9_lS5_PS4_l21rocsparse_index_base_b ; -- Begin function _ZN9rocsparseL29gebsrmm_small_blockdim_kernelILi4ELi3ELi4ELi16EdEEv20rocsparse_direction_20rocsparse_operation_iiNS_24const_host_device_scalarIT3_EEPKiS7_PKS4_iiS9_lS5_PS4_l21rocsparse_index_base_b
	.p2align	8
	.type	_ZN9rocsparseL29gebsrmm_small_blockdim_kernelILi4ELi3ELi4ELi16EdEEv20rocsparse_direction_20rocsparse_operation_iiNS_24const_host_device_scalarIT3_EEPKiS7_PKS4_iiS9_lS5_PS4_l21rocsparse_index_base_b,@function
_ZN9rocsparseL29gebsrmm_small_blockdim_kernelILi4ELi3ELi4ELi16EdEEv20rocsparse_direction_20rocsparse_operation_iiNS_24const_host_device_scalarIT3_EEPKiS7_PKS4_iiS9_lS5_PS4_l21rocsparse_index_base_b: ; @_ZN9rocsparseL29gebsrmm_small_blockdim_kernelILi4ELi3ELi4ELi16EdEEv20rocsparse_direction_20rocsparse_operation_iiNS_24const_host_device_scalarIT3_EEPKiS7_PKS4_iiS9_lS5_PS4_l21rocsparse_index_base_b
; %bb.0:
	s_load_dwordx2 s[20:21], s[4:5], 0x60
	s_load_dwordx2 s[2:3], s[4:5], 0x10
	s_load_dwordx4 s[8:11], s[4:5], 0x40
	s_waitcnt lgkmcnt(0)
	s_bitcmp1_b32 s21, 0
	s_cselect_b64 s[12:13], -1, 0
	v_mov_b32_e32 v5, s3
	s_xor_b64 s[0:1], s[12:13], -1
	s_and_b64 vcc, exec, s[12:13]
	v_mov_b32_e32 v4, s2
	s_cbranch_vccnz .LBB23_2
; %bb.1:
	v_mov_b32_e32 v2, s2
	v_mov_b32_e32 v3, s3
	flat_load_dwordx2 v[4:5], v[2:3]
.LBB23_2:
	v_mov_b32_e32 v2, s10
	s_andn2_b64 vcc, exec, s[0:1]
	v_mov_b32_e32 v3, s11
	s_cbranch_vccnz .LBB23_4
; %bb.3:
	v_mov_b32_e32 v2, s10
	v_mov_b32_e32 v3, s11
	flat_load_dwordx2 v[2:3], v[2:3]
.LBB23_4:
	s_waitcnt vmcnt(0) lgkmcnt(0)
	v_cmp_neq_f64_e32 vcc, 0, v[4:5]
	v_cmp_neq_f64_e64 s[0:1], 1.0, v[2:3]
	s_or_b64 s[0:1], vcc, s[0:1]
	s_and_saveexec_b64 s[2:3], s[0:1]
	s_cbranch_execz .LBB23_22
; %bb.5:
	s_load_dwordx4 s[16:19], s[4:5], 0x0
	s_mov_b32 s21, 0
	s_waitcnt lgkmcnt(0)
	s_cmp_lt_i32 s6, s18
	s_cselect_b64 s[22:23], -1, 0
	s_cmp_ge_i32 s6, s18
	s_mov_b32 s18, 0
	s_cbranch_scc1 .LBB23_7
; %bb.6:
	s_load_dwordx2 s[2:3], s[4:5], 0x18
	s_mov_b32 s0, s7
	s_ashr_i32 s7, s6, 31
	s_lshl_b64 s[10:11], s[6:7], 2
	s_mov_b32 s7, s0
	s_waitcnt lgkmcnt(0)
	s_add_u32 s0, s2, s10
	s_addc_u32 s1, s3, s11
	s_load_dwordx2 s[2:3], s[0:1], 0x0
	s_waitcnt lgkmcnt(0)
	s_sub_i32 s18, s2, s20
	s_sub_i32 s21, s3, s20
.LBB23_7:
	s_load_dwordx2 s[10:11], s[4:5], 0x50
	v_lshl_add_u32 v6, s7, 4, v1
	v_mov_b32_e32 v8, 0
	v_ashrrev_i32_e32 v7, 31, v6
	v_cmp_gt_i32_e64 s[0:1], s19, v6
	v_mov_b32_e32 v9, 0
	s_cmp_ge_i32 s18, s21
	v_cmp_gt_u32_e64 s[2:3], 4, v0
	s_cbranch_scc1 .LBB23_17
; %bb.8:
	s_load_dwordx4 s[12:15], s[4:5], 0x20
	s_load_dwordx2 s[30:31], s[4:5], 0x38
	v_mul_lo_u32 v15, s9, v6
	v_mul_lo_u32 v16, s8, v7
	v_mad_u64_u32 v[10:11], s[28:29], s8, v6, 0
	v_cmp_gt_u32_e32 vcc, 3, v0
	v_lshlrev_b64 v[8:9], 3, v[6:7]
	s_and_b64 s[24:25], s[0:1], vcc
	v_cmp_gt_u32_e32 vcc, 3, v1
	s_and_b64 s[26:27], s[2:3], vcc
	s_waitcnt lgkmcnt(0)
	v_mov_b32_e32 v12, s31
	v_add_co_u32_e32 v13, vcc, s30, v8
	v_add3_u32 v11, v11, v16, v15
	v_addc_co_u32_e32 v14, vcc, v12, v9, vcc
	v_lshlrev_b64 v[8:9], 3, v[10:11]
	v_mov_b32_e32 v10, s31
	v_add_co_u32_e32 v8, vcc, s30, v8
	v_addc_co_u32_e32 v9, vcc, v10, v9, vcc
	v_lshlrev_b32_e32 v10, 3, v0
	s_cmpk_lg_i32 s17, 0x6f
	v_add_co_u32_e32 v16, vcc, v8, v10
	s_cselect_b64 s[28:29], -1, 0
	v_addc_co_u32_e32 v17, vcc, 0, v9, vcc
	s_cmp_eq_u32 s16, 0
	v_lshl_add_u32 v12, v1, 2, v0
	v_mad_u32_u24 v8, v0, 3, v1
	s_cselect_b64 vcc, -1, 0
	v_cndmask_b32_e32 v8, v12, v8, vcc
	v_add_u32_e32 v19, 0x200, v10
	s_ashr_i32 s19, s18, 31
	v_mad_u64_u32 v[10:11], s[30:31], s18, 12, v[8:9]
	s_lshl_b64 s[16:17], s[18:19], 2
	v_lshlrev_b32_e32 v15, 3, v12
	s_add_u32 s12, s12, s16
	v_mov_b32_e32 v8, 0
	v_add_u32_e32 v18, 0x200, v15
	v_lshlrev_b32_e32 v1, 5, v1
	v_mov_b32_e32 v9, 0
	s_addc_u32 s13, s13, s17
	s_branch .LBB23_10
.LBB23_9:                               ;   in Loop: Header=BB23_10 Depth=1
	s_or_b64 exec, exec, s[16:17]
	s_waitcnt lgkmcnt(0)
	; wave barrier
	ds_read2_b64 v[20:23], v19 offset1:4
	ds_read_b128 v[24:27], v1
	ds_read_b64 v[11:12], v19 offset:64
	s_add_i32 s18, s18, 1
	s_add_u32 s12, s12, 4
	s_addc_u32 s13, s13, 0
	s_waitcnt lgkmcnt(1)
	v_fma_f64 v[8:9], v[20:21], v[24:25], v[8:9]
	ds_read_b64 v[20:21], v1 offset:16
	s_cmp_ge_i32 s18, s21
	v_add_u32_e32 v10, 12, v10
	s_waitcnt lgkmcnt(0)
	; wave barrier
	v_fma_f64 v[8:9], v[22:23], v[26:27], v[8:9]
	v_fma_f64 v[8:9], v[11:12], v[20:21], v[8:9]
	s_cbranch_scc1 .LBB23_17
.LBB23_10:                              ; =>This Inner Loop Header: Depth=1
	v_mov_b32_e32 v11, 0
	v_mov_b32_e32 v12, 0
	s_and_saveexec_b64 s[16:17], s[24:25]
	s_cbranch_execz .LBB23_15
; %bb.11:                               ;   in Loop: Header=BB23_10 Depth=1
	s_load_dword s7, s[12:13], 0x0
	s_mov_b64 s[34:35], -1
	s_and_b64 vcc, exec, s[28:29]
                                        ; implicit-def: $vgpr11_vgpr12
	s_waitcnt lgkmcnt(0)
	s_sub_i32 s7, s7, s20
	s_mul_i32 s30, s7, 3
	s_cbranch_vccz .LBB23_13
; %bb.12:                               ;   in Loop: Header=BB23_10 Depth=1
	v_add_u32_e32 v11, s30, v0
	v_ashrrev_i32_e32 v20, 31, v11
	v_mul_lo_u32 v21, s9, v11
	v_mad_u64_u32 v[11:12], s[34:35], s8, v11, 0
	v_mul_lo_u32 v20, s8, v20
	s_mov_b64 s[34:35], 0
	v_add3_u32 v12, v12, v20, v21
	v_lshlrev_b64 v[11:12], 3, v[11:12]
	v_add_co_u32_e32 v11, vcc, v13, v11
	v_addc_co_u32_e32 v12, vcc, v14, v12, vcc
	global_load_dwordx2 v[11:12], v[11:12], off
.LBB23_13:                              ;   in Loop: Header=BB23_10 Depth=1
	s_andn2_b64 vcc, exec, s[34:35]
	s_cbranch_vccnz .LBB23_15
; %bb.14:                               ;   in Loop: Header=BB23_10 Depth=1
	s_ashr_i32 s31, s30, 31
	s_lshl_b64 s[30:31], s[30:31], 3
	s_waitcnt vmcnt(0)
	v_mov_b32_e32 v12, s31
	v_add_co_u32_e32 v11, vcc, s30, v16
	v_addc_co_u32_e32 v12, vcc, v17, v12, vcc
	global_load_dwordx2 v[11:12], v[11:12], off
.LBB23_15:                              ;   in Loop: Header=BB23_10 Depth=1
	s_or_b64 exec, exec, s[16:17]
	s_waitcnt vmcnt(0)
	ds_write_b64 v15, v[11:12]
	s_and_saveexec_b64 s[16:17], s[26:27]
	s_cbranch_execz .LBB23_9
; %bb.16:                               ;   in Loop: Header=BB23_10 Depth=1
	v_ashrrev_i32_e32 v11, 31, v10
	v_lshlrev_b64 v[11:12], 3, v[10:11]
	v_mov_b32_e32 v20, s15
	v_add_co_u32_e32 v11, vcc, s14, v11
	v_addc_co_u32_e32 v12, vcc, v20, v12, vcc
	global_load_dwordx2 v[11:12], v[11:12], off
	s_waitcnt vmcnt(0)
	ds_write_b64 v18, v[11:12]
	s_branch .LBB23_9
.LBB23_17:
	s_and_b64 s[0:1], s[22:23], s[0:1]
	s_and_b64 s[0:1], s[0:1], s[2:3]
	s_and_b64 exec, exec, s[0:1]
	s_cbranch_execz .LBB23_22
; %bb.18:
	s_load_dwordx2 s[0:1], s[4:5], 0x58
	v_cmp_neq_f64_e32 vcc, 0, v[2:3]
	v_mul_f64 v[4:5], v[4:5], v[8:9]
	v_lshl_add_u32 v0, s6, 2, v0
	s_waitcnt lgkmcnt(0)
	v_mul_lo_u32 v1, s1, v6
	v_mul_lo_u32 v8, s0, v7
	v_mad_u64_u32 v[6:7], s[0:1], s0, v6, 0
	v_add3_u32 v7, v7, v8, v1
	v_lshlrev_b64 v[6:7], 3, v[6:7]
	v_ashrrev_i32_e32 v1, 31, v0
	s_and_saveexec_b64 s[0:1], vcc
	s_xor_b64 s[0:1], exec, s[0:1]
	s_cbranch_execz .LBB23_20
; %bb.19:
	v_mov_b32_e32 v8, s11
	v_add_co_u32_e32 v6, vcc, s10, v6
	v_lshlrev_b64 v[0:1], 3, v[0:1]
	v_addc_co_u32_e32 v7, vcc, v8, v7, vcc
	v_add_co_u32_e32 v0, vcc, v6, v0
	v_addc_co_u32_e32 v1, vcc, v7, v1, vcc
	global_load_dwordx2 v[6:7], v[0:1], off
	s_waitcnt vmcnt(0)
	v_fma_f64 v[2:3], v[2:3], v[6:7], v[4:5]
                                        ; implicit-def: $vgpr6_vgpr7
                                        ; implicit-def: $vgpr4_vgpr5
	global_store_dwordx2 v[0:1], v[2:3], off
                                        ; implicit-def: $vgpr0
.LBB23_20:
	s_andn2_saveexec_b64 s[0:1], s[0:1]
	s_cbranch_execz .LBB23_22
; %bb.21:
	v_mov_b32_e32 v2, s11
	v_add_co_u32_e32 v3, vcc, s10, v6
	v_lshlrev_b64 v[0:1], 3, v[0:1]
	v_addc_co_u32_e32 v2, vcc, v2, v7, vcc
	v_add_co_u32_e32 v0, vcc, v3, v0
	v_addc_co_u32_e32 v1, vcc, v2, v1, vcc
	global_store_dwordx2 v[0:1], v[4:5], off
.LBB23_22:
	s_endpgm
	.section	.rodata,"a",@progbits
	.p2align	6, 0x0
	.amdhsa_kernel _ZN9rocsparseL29gebsrmm_small_blockdim_kernelILi4ELi3ELi4ELi16EdEEv20rocsparse_direction_20rocsparse_operation_iiNS_24const_host_device_scalarIT3_EEPKiS7_PKS4_iiS9_lS5_PS4_l21rocsparse_index_base_b
		.amdhsa_group_segment_fixed_size 640
		.amdhsa_private_segment_fixed_size 0
		.amdhsa_kernarg_size 104
		.amdhsa_user_sgpr_count 6
		.amdhsa_user_sgpr_private_segment_buffer 1
		.amdhsa_user_sgpr_dispatch_ptr 0
		.amdhsa_user_sgpr_queue_ptr 0
		.amdhsa_user_sgpr_kernarg_segment_ptr 1
		.amdhsa_user_sgpr_dispatch_id 0
		.amdhsa_user_sgpr_flat_scratch_init 0
		.amdhsa_user_sgpr_private_segment_size 0
		.amdhsa_uses_dynamic_stack 0
		.amdhsa_system_sgpr_private_segment_wavefront_offset 0
		.amdhsa_system_sgpr_workgroup_id_x 1
		.amdhsa_system_sgpr_workgroup_id_y 1
		.amdhsa_system_sgpr_workgroup_id_z 0
		.amdhsa_system_sgpr_workgroup_info 0
		.amdhsa_system_vgpr_workitem_id 1
		.amdhsa_next_free_vgpr 28
		.amdhsa_next_free_sgpr 36
		.amdhsa_reserve_vcc 1
		.amdhsa_reserve_flat_scratch 0
		.amdhsa_float_round_mode_32 0
		.amdhsa_float_round_mode_16_64 0
		.amdhsa_float_denorm_mode_32 3
		.amdhsa_float_denorm_mode_16_64 3
		.amdhsa_dx10_clamp 1
		.amdhsa_ieee_mode 1
		.amdhsa_fp16_overflow 0
		.amdhsa_exception_fp_ieee_invalid_op 0
		.amdhsa_exception_fp_denorm_src 0
		.amdhsa_exception_fp_ieee_div_zero 0
		.amdhsa_exception_fp_ieee_overflow 0
		.amdhsa_exception_fp_ieee_underflow 0
		.amdhsa_exception_fp_ieee_inexact 0
		.amdhsa_exception_int_div_zero 0
	.end_amdhsa_kernel
	.section	.text._ZN9rocsparseL29gebsrmm_small_blockdim_kernelILi4ELi3ELi4ELi16EdEEv20rocsparse_direction_20rocsparse_operation_iiNS_24const_host_device_scalarIT3_EEPKiS7_PKS4_iiS9_lS5_PS4_l21rocsparse_index_base_b,"axG",@progbits,_ZN9rocsparseL29gebsrmm_small_blockdim_kernelILi4ELi3ELi4ELi16EdEEv20rocsparse_direction_20rocsparse_operation_iiNS_24const_host_device_scalarIT3_EEPKiS7_PKS4_iiS9_lS5_PS4_l21rocsparse_index_base_b,comdat
.Lfunc_end23:
	.size	_ZN9rocsparseL29gebsrmm_small_blockdim_kernelILi4ELi3ELi4ELi16EdEEv20rocsparse_direction_20rocsparse_operation_iiNS_24const_host_device_scalarIT3_EEPKiS7_PKS4_iiS9_lS5_PS4_l21rocsparse_index_base_b, .Lfunc_end23-_ZN9rocsparseL29gebsrmm_small_blockdim_kernelILi4ELi3ELi4ELi16EdEEv20rocsparse_direction_20rocsparse_operation_iiNS_24const_host_device_scalarIT3_EEPKiS7_PKS4_iiS9_lS5_PS4_l21rocsparse_index_base_b
                                        ; -- End function
	.set _ZN9rocsparseL29gebsrmm_small_blockdim_kernelILi4ELi3ELi4ELi16EdEEv20rocsparse_direction_20rocsparse_operation_iiNS_24const_host_device_scalarIT3_EEPKiS7_PKS4_iiS9_lS5_PS4_l21rocsparse_index_base_b.num_vgpr, 28
	.set _ZN9rocsparseL29gebsrmm_small_blockdim_kernelILi4ELi3ELi4ELi16EdEEv20rocsparse_direction_20rocsparse_operation_iiNS_24const_host_device_scalarIT3_EEPKiS7_PKS4_iiS9_lS5_PS4_l21rocsparse_index_base_b.num_agpr, 0
	.set _ZN9rocsparseL29gebsrmm_small_blockdim_kernelILi4ELi3ELi4ELi16EdEEv20rocsparse_direction_20rocsparse_operation_iiNS_24const_host_device_scalarIT3_EEPKiS7_PKS4_iiS9_lS5_PS4_l21rocsparse_index_base_b.numbered_sgpr, 36
	.set _ZN9rocsparseL29gebsrmm_small_blockdim_kernelILi4ELi3ELi4ELi16EdEEv20rocsparse_direction_20rocsparse_operation_iiNS_24const_host_device_scalarIT3_EEPKiS7_PKS4_iiS9_lS5_PS4_l21rocsparse_index_base_b.num_named_barrier, 0
	.set _ZN9rocsparseL29gebsrmm_small_blockdim_kernelILi4ELi3ELi4ELi16EdEEv20rocsparse_direction_20rocsparse_operation_iiNS_24const_host_device_scalarIT3_EEPKiS7_PKS4_iiS9_lS5_PS4_l21rocsparse_index_base_b.private_seg_size, 0
	.set _ZN9rocsparseL29gebsrmm_small_blockdim_kernelILi4ELi3ELi4ELi16EdEEv20rocsparse_direction_20rocsparse_operation_iiNS_24const_host_device_scalarIT3_EEPKiS7_PKS4_iiS9_lS5_PS4_l21rocsparse_index_base_b.uses_vcc, 1
	.set _ZN9rocsparseL29gebsrmm_small_blockdim_kernelILi4ELi3ELi4ELi16EdEEv20rocsparse_direction_20rocsparse_operation_iiNS_24const_host_device_scalarIT3_EEPKiS7_PKS4_iiS9_lS5_PS4_l21rocsparse_index_base_b.uses_flat_scratch, 0
	.set _ZN9rocsparseL29gebsrmm_small_blockdim_kernelILi4ELi3ELi4ELi16EdEEv20rocsparse_direction_20rocsparse_operation_iiNS_24const_host_device_scalarIT3_EEPKiS7_PKS4_iiS9_lS5_PS4_l21rocsparse_index_base_b.has_dyn_sized_stack, 0
	.set _ZN9rocsparseL29gebsrmm_small_blockdim_kernelILi4ELi3ELi4ELi16EdEEv20rocsparse_direction_20rocsparse_operation_iiNS_24const_host_device_scalarIT3_EEPKiS7_PKS4_iiS9_lS5_PS4_l21rocsparse_index_base_b.has_recursion, 0
	.set _ZN9rocsparseL29gebsrmm_small_blockdim_kernelILi4ELi3ELi4ELi16EdEEv20rocsparse_direction_20rocsparse_operation_iiNS_24const_host_device_scalarIT3_EEPKiS7_PKS4_iiS9_lS5_PS4_l21rocsparse_index_base_b.has_indirect_call, 0
	.section	.AMDGPU.csdata,"",@progbits
; Kernel info:
; codeLenInByte = 1024
; TotalNumSgprs: 40
; NumVgprs: 28
; ScratchSize: 0
; MemoryBound: 0
; FloatMode: 240
; IeeeMode: 1
; LDSByteSize: 640 bytes/workgroup (compile time only)
; SGPRBlocks: 4
; VGPRBlocks: 6
; NumSGPRsForWavesPerEU: 40
; NumVGPRsForWavesPerEU: 28
; Occupancy: 9
; WaveLimiterHint : 1
; COMPUTE_PGM_RSRC2:SCRATCH_EN: 0
; COMPUTE_PGM_RSRC2:USER_SGPR: 6
; COMPUTE_PGM_RSRC2:TRAP_HANDLER: 0
; COMPUTE_PGM_RSRC2:TGID_X_EN: 1
; COMPUTE_PGM_RSRC2:TGID_Y_EN: 1
; COMPUTE_PGM_RSRC2:TGID_Z_EN: 0
; COMPUTE_PGM_RSRC2:TIDIG_COMP_CNT: 1
	.section	.text._ZN9rocsparseL29gebsrmm_small_blockdim_kernelILi1ELi2ELi2ELi16E21rocsparse_complex_numIfEEEv20rocsparse_direction_20rocsparse_operation_iiNS_24const_host_device_scalarIT3_EEPKiS9_PKS6_iiSB_lS7_PS6_l21rocsparse_index_base_b,"axG",@progbits,_ZN9rocsparseL29gebsrmm_small_blockdim_kernelILi1ELi2ELi2ELi16E21rocsparse_complex_numIfEEEv20rocsparse_direction_20rocsparse_operation_iiNS_24const_host_device_scalarIT3_EEPKiS9_PKS6_iiSB_lS7_PS6_l21rocsparse_index_base_b,comdat
	.globl	_ZN9rocsparseL29gebsrmm_small_blockdim_kernelILi1ELi2ELi2ELi16E21rocsparse_complex_numIfEEEv20rocsparse_direction_20rocsparse_operation_iiNS_24const_host_device_scalarIT3_EEPKiS9_PKS6_iiSB_lS7_PS6_l21rocsparse_index_base_b ; -- Begin function _ZN9rocsparseL29gebsrmm_small_blockdim_kernelILi1ELi2ELi2ELi16E21rocsparse_complex_numIfEEEv20rocsparse_direction_20rocsparse_operation_iiNS_24const_host_device_scalarIT3_EEPKiS9_PKS6_iiSB_lS7_PS6_l21rocsparse_index_base_b
	.p2align	8
	.type	_ZN9rocsparseL29gebsrmm_small_blockdim_kernelILi1ELi2ELi2ELi16E21rocsparse_complex_numIfEEEv20rocsparse_direction_20rocsparse_operation_iiNS_24const_host_device_scalarIT3_EEPKiS9_PKS6_iiSB_lS7_PS6_l21rocsparse_index_base_b,@function
_ZN9rocsparseL29gebsrmm_small_blockdim_kernelILi1ELi2ELi2ELi16E21rocsparse_complex_numIfEEEv20rocsparse_direction_20rocsparse_operation_iiNS_24const_host_device_scalarIT3_EEPKiS9_PKS6_iiSB_lS7_PS6_l21rocsparse_index_base_b: ; @_ZN9rocsparseL29gebsrmm_small_blockdim_kernelILi1ELi2ELi2ELi16E21rocsparse_complex_numIfEEEv20rocsparse_direction_20rocsparse_operation_iiNS_24const_host_device_scalarIT3_EEPKiS9_PKS6_iiSB_lS7_PS6_l21rocsparse_index_base_b
; %bb.0:
	s_load_dwordx2 s[0:1], s[4:5], 0x10
	s_load_dwordx4 s[8:11], s[4:5], 0x40
	s_load_dwordx2 s[20:21], s[4:5], 0x60
	s_add_u32 s2, s4, 16
	s_addc_u32 s3, s5, 0
	s_add_u32 s12, s4, 0x48
	s_addc_u32 s13, s5, 0
	s_waitcnt lgkmcnt(0)
	s_bitcmp1_b32 s21, 0
	s_cselect_b32 s1, s3, s1
	s_cselect_b32 s0, s2, s0
	v_mov_b32_e32 v2, s0
	v_mov_b32_e32 v3, s1
	flat_load_dwordx2 v[4:5], v[2:3]
	s_cselect_b32 s0, s13, s11
	s_cselect_b32 s1, s12, s10
	v_mov_b32_e32 v2, s1
	v_mov_b32_e32 v3, s0
	flat_load_dwordx2 v[2:3], v[2:3]
	s_waitcnt vmcnt(0) lgkmcnt(0)
	v_cmp_eq_f32_e32 vcc, 0, v4
	v_cmp_eq_f32_e64 s[0:1], 0, v5
	s_and_b64 s[10:11], vcc, s[0:1]
	s_mov_b64 s[0:1], -1
	s_and_saveexec_b64 s[2:3], s[10:11]
; %bb.1:
	v_cmp_neq_f32_e32 vcc, 1.0, v2
	v_cmp_neq_f32_e64 s[0:1], 0, v3
	s_or_b64 s[0:1], vcc, s[0:1]
	s_orn2_b64 s[0:1], s[0:1], exec
; %bb.2:
	s_or_b64 exec, exec, s[2:3]
	s_and_saveexec_b64 s[2:3], s[0:1]
	s_cbranch_execz .LBB24_22
; %bb.3:
	s_load_dwordx4 s[16:19], s[4:5], 0x4
	s_mov_b32 s21, 0
	s_mov_b32 s24, 0
	s_waitcnt lgkmcnt(0)
	s_cmp_lt_i32 s6, s17
	s_cselect_b64 s[22:23], -1, 0
	s_cmp_ge_i32 s6, s17
	s_cbranch_scc1 .LBB24_5
; %bb.4:
	s_load_dwordx2 s[2:3], s[4:5], 0x18
	s_mov_b32 s0, s7
	s_ashr_i32 s7, s6, 31
	s_lshl_b64 s[10:11], s[6:7], 2
	s_mov_b32 s7, s0
	s_waitcnt lgkmcnt(0)
	s_add_u32 s0, s2, s10
	s_addc_u32 s1, s3, s11
	s_load_dwordx2 s[2:3], s[0:1], 0x0
	s_waitcnt lgkmcnt(0)
	s_sub_i32 s24, s2, s20
	s_sub_i32 s21, s3, s20
.LBB24_5:
	s_load_dwordx2 s[10:11], s[4:5], 0x50
	v_lshl_add_u32 v6, s7, 4, v1
	v_ashrrev_i32_e32 v7, 31, v6
	v_cmp_gt_i32_e64 s[0:1], s18, v6
	v_cmp_eq_u32_e64 s[2:3], 0, v0
	v_mov_b32_e32 v12, 0
	s_cmp_ge_i32 s24, s21
	v_mov_b32_e32 v14, 0
	s_cbranch_scc1 .LBB24_17
; %bb.6:
	s_load_dwordx4 s[12:15], s[4:5], 0x20
	s_load_dwordx2 s[28:29], s[4:5], 0x38
	v_mul_lo_u32 v14, s9, v6
	v_mul_lo_u32 v16, s8, v7
	v_mad_u64_u32 v[10:11], s[30:31], s8, v6, 0
	v_cmp_lt_u32_e32 vcc, 1, v0
	s_xor_b64 s[18:19], s[0:1], -1
	v_lshlrev_b64 v[8:9], 3, v[6:7]
	s_or_b64 s[18:19], s[18:19], vcc
	v_cmp_gt_u32_e32 vcc, 2, v1
	s_and_b64 s[26:27], s[2:3], vcc
	s_waitcnt lgkmcnt(0)
	v_mov_b32_e32 v12, s29
	v_add_co_u32_e32 v13, vcc, s28, v8
	v_add3_u32 v11, v11, v16, v14
	v_lshlrev_b32_e32 v8, 1, v1
	v_addc_co_u32_e32 v15, vcc, v12, v9, vcc
	v_add_lshl_u32 v16, v8, v0, 3
	v_lshlrev_b64 v[8:9], 3, v[10:11]
	s_cmpk_lg_i32 s16, 0x6f
	s_cselect_b64 s[16:17], -1, 0
	v_mov_b32_e32 v10, s29
	v_add_co_u32_e32 v11, vcc, s28, v8
	s_ashr_i32 s25, s24, 31
	v_addc_co_u32_e32 v9, vcc, v10, v9, vcc
	v_lshlrev_b32_e32 v10, 3, v0
	s_lshl_b64 s[28:29], s[24:25], 2
	v_add_co_u32_e32 v17, vcc, v11, v10
	s_add_u32 s12, s12, s28
	v_mov_b32_e32 v8, 0
	v_addc_co_u32_e32 v18, vcc, 0, v9, vcc
	v_add_u32_e32 v19, 0x100, v16
	v_add_u32_e32 v20, 0x100, v10
	v_lshlrev_b32_e32 v21, 4, v1
	s_addc_u32 s13, s13, s29
	v_lshl_add_u32 v10, s24, 1, v1
	v_mov_b32_e32 v12, 0
	v_mov_b32_e32 v14, 0
	s_branch .LBB24_8
.LBB24_7:                               ;   in Loop: Header=BB24_8 Depth=1
	s_or_b64 exec, exec, s[28:29]
	s_waitcnt lgkmcnt(0)
	; wave barrier
	ds_read2_b64 v[22:25], v20 offset1:2
	ds_read_b128 v[26:29], v21
	s_add_i32 s24, s24, 1
	s_add_u32 s12, s12, 4
	s_addc_u32 s13, s13, 0
	s_cmp_ge_i32 s24, s21
	s_waitcnt lgkmcnt(0)
	v_fmac_f32_e32 v14, v22, v26
	v_fmac_f32_e32 v12, v23, v26
	v_fma_f32 v1, -v23, v27, v14
	v_fmac_f32_e32 v12, v22, v27
	v_fmac_f32_e32 v1, v24, v28
	;; [unrolled: 1-line block ×3, first 2 shown]
	v_fma_f32 v14, -v25, v29, v1
	v_fmac_f32_e32 v12, v24, v29
	v_add_u32_e32 v10, 2, v10
	; wave barrier
	s_cbranch_scc1 .LBB24_17
.LBB24_8:                               ; =>This Inner Loop Header: Depth=1
	s_and_saveexec_b64 s[28:29], s[18:19]
	s_xor_b64 s[28:29], exec, s[28:29]
; %bb.9:                                ;   in Loop: Header=BB24_8 Depth=1
	v_mov_b32_e32 v9, v8
	ds_write_b64 v16, v[8:9]
; %bb.10:                               ;   in Loop: Header=BB24_8 Depth=1
	s_andn2_saveexec_b64 s[28:29], s[28:29]
	s_cbranch_execz .LBB24_15
; %bb.11:                               ;   in Loop: Header=BB24_8 Depth=1
	s_load_dword s7, s[12:13], 0x0
	s_mov_b64 s[34:35], -1
	s_and_b64 vcc, exec, s[16:17]
	s_waitcnt lgkmcnt(0)
	s_sub_i32 s7, s7, s20
	s_lshl_b32 s30, s7, 1
	s_cbranch_vccz .LBB24_13
; %bb.12:                               ;   in Loop: Header=BB24_8 Depth=1
	v_or_b32_e32 v1, s30, v0
	v_mul_lo_u32 v9, s9, v1
	v_mad_u64_u32 v[22:23], s[34:35], s8, v1, 0
	s_ashr_i32 s7, s30, 31
	s_mul_i32 s7, s8, s7
	v_add3_u32 v23, v23, s7, v9
	v_lshlrev_b64 v[22:23], 3, v[22:23]
	s_mov_b64 s[34:35], 0
	v_add_co_u32_e32 v22, vcc, v13, v22
	v_addc_co_u32_e32 v23, vcc, v15, v23, vcc
	global_load_dwordx2 v[22:23], v[22:23], off
	s_waitcnt vmcnt(0)
	ds_write_b64 v16, v[22:23]
.LBB24_13:                              ;   in Loop: Header=BB24_8 Depth=1
	s_andn2_b64 vcc, exec, s[34:35]
	s_cbranch_vccnz .LBB24_15
; %bb.14:                               ;   in Loop: Header=BB24_8 Depth=1
	s_ashr_i32 s31, s30, 31
	s_lshl_b64 s[30:31], s[30:31], 3
	v_mov_b32_e32 v1, s31
	v_add_co_u32_e32 v22, vcc, s30, v17
	v_addc_co_u32_e32 v23, vcc, v18, v1, vcc
	global_load_dwordx2 v[22:23], v[22:23], off
	s_waitcnt vmcnt(0)
	ds_write_b64 v16, v[22:23]
.LBB24_15:                              ;   in Loop: Header=BB24_8 Depth=1
	s_or_b64 exec, exec, s[28:29]
	s_and_saveexec_b64 s[28:29], s[26:27]
	s_cbranch_execz .LBB24_7
; %bb.16:                               ;   in Loop: Header=BB24_8 Depth=1
	v_ashrrev_i32_e32 v11, 31, v10
	v_lshlrev_b64 v[22:23], 3, v[10:11]
	v_mov_b32_e32 v1, s15
	v_add_co_u32_e32 v22, vcc, s14, v22
	v_addc_co_u32_e32 v23, vcc, v1, v23, vcc
	global_load_dwordx2 v[22:23], v[22:23], off
	s_waitcnt vmcnt(0)
	ds_write_b64 v19, v[22:23]
	s_branch .LBB24_7
.LBB24_17:
	s_and_b64 s[0:1], s[2:3], s[0:1]
	s_and_b64 s[0:1], s[22:23], s[0:1]
	s_and_b64 exec, exec, s[0:1]
	s_cbranch_execz .LBB24_22
; %bb.18:
	s_load_dwordx2 s[0:1], s[4:5], 0x58
	v_add_u32_e32 v8, s6, v0
	v_cmp_neq_f32_e32 vcc, 0, v2
	v_ashrrev_i32_e32 v9, 31, v8
	s_waitcnt lgkmcnt(0)
	v_mul_lo_u32 v0, s1, v6
	v_mul_lo_u32 v1, s0, v7
	v_mad_u64_u32 v[6:7], s[0:1], s0, v6, 0
	v_cmp_neq_f32_e64 s[0:1], 0, v3
	s_or_b64 s[0:1], vcc, s[0:1]
	v_add3_u32 v7, v7, v1, v0
	v_mul_f32_e64 v0, v12, -v5
	v_mul_f32_e32 v1, v4, v12
	v_lshlrev_b64 v[6:7], 3, v[6:7]
	v_fmac_f32_e32 v0, v4, v14
	v_fmac_f32_e32 v1, v5, v14
	s_and_saveexec_b64 s[2:3], s[0:1]
	s_xor_b64 s[0:1], exec, s[2:3]
	s_cbranch_execz .LBB24_20
; %bb.19:
	v_mov_b32_e32 v4, s11
	v_add_co_u32_e32 v6, vcc, s10, v6
	v_addc_co_u32_e32 v7, vcc, v4, v7, vcc
	v_lshlrev_b64 v[4:5], 3, v[8:9]
                                        ; implicit-def: $vgpr8
	v_add_co_u32_e32 v4, vcc, v6, v4
	v_addc_co_u32_e32 v5, vcc, v7, v5, vcc
	global_load_dwordx2 v[6:7], v[4:5], off
	s_waitcnt vmcnt(0)
	v_fmac_f32_e32 v0, v2, v6
	v_fmac_f32_e32 v1, v3, v6
	v_fma_f32 v0, -v3, v7, v0
	v_fmac_f32_e32 v1, v2, v7
	global_store_dwordx2 v[4:5], v[0:1], off
                                        ; implicit-def: $vgpr6_vgpr7
                                        ; implicit-def: $vgpr0
.LBB24_20:
	s_andn2_saveexec_b64 s[0:1], s[0:1]
	s_cbranch_execz .LBB24_22
; %bb.21:
	v_mov_b32_e32 v2, s11
	v_add_co_u32_e32 v4, vcc, s10, v6
	v_addc_co_u32_e32 v5, vcc, v2, v7, vcc
	v_lshlrev_b64 v[2:3], 3, v[8:9]
	v_add_co_u32_e32 v2, vcc, v4, v2
	v_addc_co_u32_e32 v3, vcc, v5, v3, vcc
	global_store_dwordx2 v[2:3], v[0:1], off
.LBB24_22:
	s_endpgm
	.section	.rodata,"a",@progbits
	.p2align	6, 0x0
	.amdhsa_kernel _ZN9rocsparseL29gebsrmm_small_blockdim_kernelILi1ELi2ELi2ELi16E21rocsparse_complex_numIfEEEv20rocsparse_direction_20rocsparse_operation_iiNS_24const_host_device_scalarIT3_EEPKiS9_PKS6_iiSB_lS7_PS6_l21rocsparse_index_base_b
		.amdhsa_group_segment_fixed_size 288
		.amdhsa_private_segment_fixed_size 0
		.amdhsa_kernarg_size 104
		.amdhsa_user_sgpr_count 6
		.amdhsa_user_sgpr_private_segment_buffer 1
		.amdhsa_user_sgpr_dispatch_ptr 0
		.amdhsa_user_sgpr_queue_ptr 0
		.amdhsa_user_sgpr_kernarg_segment_ptr 1
		.amdhsa_user_sgpr_dispatch_id 0
		.amdhsa_user_sgpr_flat_scratch_init 0
		.amdhsa_user_sgpr_private_segment_size 0
		.amdhsa_uses_dynamic_stack 0
		.amdhsa_system_sgpr_private_segment_wavefront_offset 0
		.amdhsa_system_sgpr_workgroup_id_x 1
		.amdhsa_system_sgpr_workgroup_id_y 1
		.amdhsa_system_sgpr_workgroup_id_z 0
		.amdhsa_system_sgpr_workgroup_info 0
		.amdhsa_system_vgpr_workitem_id 1
		.amdhsa_next_free_vgpr 30
		.amdhsa_next_free_sgpr 36
		.amdhsa_reserve_vcc 1
		.amdhsa_reserve_flat_scratch 0
		.amdhsa_float_round_mode_32 0
		.amdhsa_float_round_mode_16_64 0
		.amdhsa_float_denorm_mode_32 3
		.amdhsa_float_denorm_mode_16_64 3
		.amdhsa_dx10_clamp 1
		.amdhsa_ieee_mode 1
		.amdhsa_fp16_overflow 0
		.amdhsa_exception_fp_ieee_invalid_op 0
		.amdhsa_exception_fp_denorm_src 0
		.amdhsa_exception_fp_ieee_div_zero 0
		.amdhsa_exception_fp_ieee_overflow 0
		.amdhsa_exception_fp_ieee_underflow 0
		.amdhsa_exception_fp_ieee_inexact 0
		.amdhsa_exception_int_div_zero 0
	.end_amdhsa_kernel
	.section	.text._ZN9rocsparseL29gebsrmm_small_blockdim_kernelILi1ELi2ELi2ELi16E21rocsparse_complex_numIfEEEv20rocsparse_direction_20rocsparse_operation_iiNS_24const_host_device_scalarIT3_EEPKiS9_PKS6_iiSB_lS7_PS6_l21rocsparse_index_base_b,"axG",@progbits,_ZN9rocsparseL29gebsrmm_small_blockdim_kernelILi1ELi2ELi2ELi16E21rocsparse_complex_numIfEEEv20rocsparse_direction_20rocsparse_operation_iiNS_24const_host_device_scalarIT3_EEPKiS9_PKS6_iiSB_lS7_PS6_l21rocsparse_index_base_b,comdat
.Lfunc_end24:
	.size	_ZN9rocsparseL29gebsrmm_small_blockdim_kernelILi1ELi2ELi2ELi16E21rocsparse_complex_numIfEEEv20rocsparse_direction_20rocsparse_operation_iiNS_24const_host_device_scalarIT3_EEPKiS9_PKS6_iiSB_lS7_PS6_l21rocsparse_index_base_b, .Lfunc_end24-_ZN9rocsparseL29gebsrmm_small_blockdim_kernelILi1ELi2ELi2ELi16E21rocsparse_complex_numIfEEEv20rocsparse_direction_20rocsparse_operation_iiNS_24const_host_device_scalarIT3_EEPKiS9_PKS6_iiSB_lS7_PS6_l21rocsparse_index_base_b
                                        ; -- End function
	.set _ZN9rocsparseL29gebsrmm_small_blockdim_kernelILi1ELi2ELi2ELi16E21rocsparse_complex_numIfEEEv20rocsparse_direction_20rocsparse_operation_iiNS_24const_host_device_scalarIT3_EEPKiS9_PKS6_iiSB_lS7_PS6_l21rocsparse_index_base_b.num_vgpr, 30
	.set _ZN9rocsparseL29gebsrmm_small_blockdim_kernelILi1ELi2ELi2ELi16E21rocsparse_complex_numIfEEEv20rocsparse_direction_20rocsparse_operation_iiNS_24const_host_device_scalarIT3_EEPKiS9_PKS6_iiSB_lS7_PS6_l21rocsparse_index_base_b.num_agpr, 0
	.set _ZN9rocsparseL29gebsrmm_small_blockdim_kernelILi1ELi2ELi2ELi16E21rocsparse_complex_numIfEEEv20rocsparse_direction_20rocsparse_operation_iiNS_24const_host_device_scalarIT3_EEPKiS9_PKS6_iiSB_lS7_PS6_l21rocsparse_index_base_b.numbered_sgpr, 36
	.set _ZN9rocsparseL29gebsrmm_small_blockdim_kernelILi1ELi2ELi2ELi16E21rocsparse_complex_numIfEEEv20rocsparse_direction_20rocsparse_operation_iiNS_24const_host_device_scalarIT3_EEPKiS9_PKS6_iiSB_lS7_PS6_l21rocsparse_index_base_b.num_named_barrier, 0
	.set _ZN9rocsparseL29gebsrmm_small_blockdim_kernelILi1ELi2ELi2ELi16E21rocsparse_complex_numIfEEEv20rocsparse_direction_20rocsparse_operation_iiNS_24const_host_device_scalarIT3_EEPKiS9_PKS6_iiSB_lS7_PS6_l21rocsparse_index_base_b.private_seg_size, 0
	.set _ZN9rocsparseL29gebsrmm_small_blockdim_kernelILi1ELi2ELi2ELi16E21rocsparse_complex_numIfEEEv20rocsparse_direction_20rocsparse_operation_iiNS_24const_host_device_scalarIT3_EEPKiS9_PKS6_iiSB_lS7_PS6_l21rocsparse_index_base_b.uses_vcc, 1
	.set _ZN9rocsparseL29gebsrmm_small_blockdim_kernelILi1ELi2ELi2ELi16E21rocsparse_complex_numIfEEEv20rocsparse_direction_20rocsparse_operation_iiNS_24const_host_device_scalarIT3_EEPKiS9_PKS6_iiSB_lS7_PS6_l21rocsparse_index_base_b.uses_flat_scratch, 0
	.set _ZN9rocsparseL29gebsrmm_small_blockdim_kernelILi1ELi2ELi2ELi16E21rocsparse_complex_numIfEEEv20rocsparse_direction_20rocsparse_operation_iiNS_24const_host_device_scalarIT3_EEPKiS9_PKS6_iiSB_lS7_PS6_l21rocsparse_index_base_b.has_dyn_sized_stack, 0
	.set _ZN9rocsparseL29gebsrmm_small_blockdim_kernelILi1ELi2ELi2ELi16E21rocsparse_complex_numIfEEEv20rocsparse_direction_20rocsparse_operation_iiNS_24const_host_device_scalarIT3_EEPKiS9_PKS6_iiSB_lS7_PS6_l21rocsparse_index_base_b.has_recursion, 0
	.set _ZN9rocsparseL29gebsrmm_small_blockdim_kernelILi1ELi2ELi2ELi16E21rocsparse_complex_numIfEEEv20rocsparse_direction_20rocsparse_operation_iiNS_24const_host_device_scalarIT3_EEPKiS9_PKS6_iiSB_lS7_PS6_l21rocsparse_index_base_b.has_indirect_call, 0
	.section	.AMDGPU.csdata,"",@progbits
; Kernel info:
; codeLenInByte = 1084
; TotalNumSgprs: 40
; NumVgprs: 30
; ScratchSize: 0
; MemoryBound: 0
; FloatMode: 240
; IeeeMode: 1
; LDSByteSize: 288 bytes/workgroup (compile time only)
; SGPRBlocks: 4
; VGPRBlocks: 7
; NumSGPRsForWavesPerEU: 40
; NumVGPRsForWavesPerEU: 30
; Occupancy: 8
; WaveLimiterHint : 1
; COMPUTE_PGM_RSRC2:SCRATCH_EN: 0
; COMPUTE_PGM_RSRC2:USER_SGPR: 6
; COMPUTE_PGM_RSRC2:TRAP_HANDLER: 0
; COMPUTE_PGM_RSRC2:TGID_X_EN: 1
; COMPUTE_PGM_RSRC2:TGID_Y_EN: 1
; COMPUTE_PGM_RSRC2:TGID_Z_EN: 0
; COMPUTE_PGM_RSRC2:TIDIG_COMP_CNT: 1
	.section	.text._ZN9rocsparseL29gebsrmm_small_blockdim_kernelILi1ELi3ELi3ELi16E21rocsparse_complex_numIfEEEv20rocsparse_direction_20rocsparse_operation_iiNS_24const_host_device_scalarIT3_EEPKiS9_PKS6_iiSB_lS7_PS6_l21rocsparse_index_base_b,"axG",@progbits,_ZN9rocsparseL29gebsrmm_small_blockdim_kernelILi1ELi3ELi3ELi16E21rocsparse_complex_numIfEEEv20rocsparse_direction_20rocsparse_operation_iiNS_24const_host_device_scalarIT3_EEPKiS9_PKS6_iiSB_lS7_PS6_l21rocsparse_index_base_b,comdat
	.globl	_ZN9rocsparseL29gebsrmm_small_blockdim_kernelILi1ELi3ELi3ELi16E21rocsparse_complex_numIfEEEv20rocsparse_direction_20rocsparse_operation_iiNS_24const_host_device_scalarIT3_EEPKiS9_PKS6_iiSB_lS7_PS6_l21rocsparse_index_base_b ; -- Begin function _ZN9rocsparseL29gebsrmm_small_blockdim_kernelILi1ELi3ELi3ELi16E21rocsparse_complex_numIfEEEv20rocsparse_direction_20rocsparse_operation_iiNS_24const_host_device_scalarIT3_EEPKiS9_PKS6_iiSB_lS7_PS6_l21rocsparse_index_base_b
	.p2align	8
	.type	_ZN9rocsparseL29gebsrmm_small_blockdim_kernelILi1ELi3ELi3ELi16E21rocsparse_complex_numIfEEEv20rocsparse_direction_20rocsparse_operation_iiNS_24const_host_device_scalarIT3_EEPKiS9_PKS6_iiSB_lS7_PS6_l21rocsparse_index_base_b,@function
_ZN9rocsparseL29gebsrmm_small_blockdim_kernelILi1ELi3ELi3ELi16E21rocsparse_complex_numIfEEEv20rocsparse_direction_20rocsparse_operation_iiNS_24const_host_device_scalarIT3_EEPKiS9_PKS6_iiSB_lS7_PS6_l21rocsparse_index_base_b: ; @_ZN9rocsparseL29gebsrmm_small_blockdim_kernelILi1ELi3ELi3ELi16E21rocsparse_complex_numIfEEEv20rocsparse_direction_20rocsparse_operation_iiNS_24const_host_device_scalarIT3_EEPKiS9_PKS6_iiSB_lS7_PS6_l21rocsparse_index_base_b
; %bb.0:
	s_load_dwordx2 s[0:1], s[4:5], 0x10
	s_load_dwordx4 s[8:11], s[4:5], 0x40
	s_load_dwordx2 s[20:21], s[4:5], 0x60
	s_add_u32 s2, s4, 16
	s_addc_u32 s3, s5, 0
	s_add_u32 s12, s4, 0x48
	s_addc_u32 s13, s5, 0
	s_waitcnt lgkmcnt(0)
	s_bitcmp1_b32 s21, 0
	s_cselect_b32 s1, s3, s1
	s_cselect_b32 s0, s2, s0
	v_mov_b32_e32 v2, s0
	v_mov_b32_e32 v3, s1
	flat_load_dwordx2 v[4:5], v[2:3]
	s_cselect_b32 s0, s13, s11
	s_cselect_b32 s1, s12, s10
	v_mov_b32_e32 v2, s1
	v_mov_b32_e32 v3, s0
	flat_load_dwordx2 v[2:3], v[2:3]
	s_waitcnt vmcnt(0) lgkmcnt(0)
	v_cmp_eq_f32_e32 vcc, 0, v4
	v_cmp_eq_f32_e64 s[0:1], 0, v5
	s_and_b64 s[10:11], vcc, s[0:1]
	s_mov_b64 s[0:1], -1
	s_and_saveexec_b64 s[2:3], s[10:11]
; %bb.1:
	v_cmp_neq_f32_e32 vcc, 1.0, v2
	v_cmp_neq_f32_e64 s[0:1], 0, v3
	s_or_b64 s[0:1], vcc, s[0:1]
	s_orn2_b64 s[0:1], s[0:1], exec
; %bb.2:
	s_or_b64 exec, exec, s[2:3]
	s_and_saveexec_b64 s[2:3], s[0:1]
	s_cbranch_execz .LBB25_22
; %bb.3:
	s_load_dwordx4 s[16:19], s[4:5], 0x4
	s_mov_b32 s21, 0
	s_mov_b32 s24, 0
	s_waitcnt lgkmcnt(0)
	s_cmp_lt_i32 s6, s17
	s_cselect_b64 s[22:23], -1, 0
	s_cmp_ge_i32 s6, s17
	s_cbranch_scc1 .LBB25_5
; %bb.4:
	s_load_dwordx2 s[2:3], s[4:5], 0x18
	s_mov_b32 s0, s7
	s_ashr_i32 s7, s6, 31
	s_lshl_b64 s[10:11], s[6:7], 2
	s_mov_b32 s7, s0
	s_waitcnt lgkmcnt(0)
	s_add_u32 s0, s2, s10
	s_addc_u32 s1, s3, s11
	s_load_dwordx2 s[2:3], s[0:1], 0x0
	s_waitcnt lgkmcnt(0)
	s_sub_i32 s24, s2, s20
	s_sub_i32 s21, s3, s20
.LBB25_5:
	s_load_dwordx2 s[10:11], s[4:5], 0x50
	v_lshl_add_u32 v6, s7, 4, v1
	v_ashrrev_i32_e32 v7, 31, v6
	v_cmp_gt_i32_e64 s[0:1], s18, v6
	v_cmp_eq_u32_e64 s[2:3], 0, v0
	v_mov_b32_e32 v12, 0
	s_cmp_ge_i32 s24, s21
	v_mov_b32_e32 v18, 0
	s_cbranch_scc1 .LBB25_17
; %bb.6:
	s_load_dwordx4 s[12:15], s[4:5], 0x20
	s_load_dwordx2 s[28:29], s[4:5], 0x38
	v_mul_lo_u32 v15, s9, v6
	v_mul_lo_u32 v16, s8, v7
	v_mad_u64_u32 v[10:11], s[30:31], s8, v6, 0
	v_cmp_lt_u32_e32 vcc, 2, v0
	s_xor_b64 s[18:19], s[0:1], -1
	v_lshlrev_b64 v[8:9], 3, v[6:7]
	s_or_b64 s[18:19], s[18:19], vcc
	v_cmp_gt_u32_e32 vcc, 3, v1
	s_and_b64 s[26:27], s[2:3], vcc
	s_waitcnt lgkmcnt(0)
	v_mov_b32_e32 v12, s29
	v_add_co_u32_e32 v13, vcc, s28, v8
	v_add3_u32 v11, v11, v16, v15
	v_addc_co_u32_e32 v14, vcc, v12, v9, vcc
	v_lshlrev_b64 v[8:9], 3, v[10:11]
	v_mov_b32_e32 v10, s29
	v_add_co_u32_e32 v11, vcc, s28, v8
	s_cmpk_lg_i32 s16, 0x6f
	v_addc_co_u32_e32 v9, vcc, v10, v9, vcc
	v_lshlrev_b32_e32 v10, 3, v0
	s_cselect_b64 s[16:17], -1, 0
	v_add_co_u32_e32 v16, vcc, v11, v10
	v_add_u32_e32 v20, 0x180, v10
	s_ashr_i32 s25, s24, 31
	v_mad_u64_u32 v[10:11], s[30:31], s24, 3, v[1:2]
	v_mul_u32_u24_e32 v12, 3, v1
	s_lshl_b64 s[28:29], s[24:25], 2
	v_add_lshl_u32 v15, v12, v0, 3
	s_add_u32 s12, s12, s28
	v_mov_b32_e32 v8, 0
	v_addc_co_u32_e32 v17, vcc, 0, v9, vcc
	v_add_u32_e32 v19, 0x180, v15
	v_lshlrev_b32_e32 v21, 3, v12
	s_addc_u32 s13, s13, s29
	v_mov_b32_e32 v12, 0
	v_mov_b32_e32 v18, 0
	s_branch .LBB25_8
.LBB25_7:                               ;   in Loop: Header=BB25_8 Depth=1
	s_or_b64 exec, exec, s[28:29]
	s_waitcnt lgkmcnt(0)
	; wave barrier
	ds_read2_b64 v[22:25], v20 offset1:3
	ds_read2_b64 v[26:29], v21 offset1:1
	ds_read_b64 v[30:31], v20 offset:48
	s_add_i32 s24, s24, 1
	s_add_u32 s12, s12, 4
	s_addc_u32 s13, s13, 0
	s_waitcnt lgkmcnt(1)
	v_fmac_f32_e32 v18, v22, v26
	v_fmac_f32_e32 v12, v23, v26
	v_fma_f32 v1, -v23, v27, v18
	v_fmac_f32_e32 v12, v22, v27
	ds_read_b64 v[22:23], v21 offset:16
	v_fmac_f32_e32 v1, v24, v28
	v_fmac_f32_e32 v12, v25, v28
	v_fma_f32 v1, -v25, v29, v1
	v_fmac_f32_e32 v12, v24, v29
	s_waitcnt lgkmcnt(0)
	v_fmac_f32_e32 v1, v30, v22
	v_fmac_f32_e32 v12, v31, v22
	v_fma_f32 v18, -v31, v23, v1
	v_fmac_f32_e32 v12, v30, v23
	s_cmp_ge_i32 s24, s21
	v_add_u32_e32 v10, 3, v10
	; wave barrier
	s_cbranch_scc1 .LBB25_17
.LBB25_8:                               ; =>This Inner Loop Header: Depth=1
	s_and_saveexec_b64 s[28:29], s[18:19]
	s_xor_b64 s[28:29], exec, s[28:29]
; %bb.9:                                ;   in Loop: Header=BB25_8 Depth=1
	v_mov_b32_e32 v9, v8
	ds_write_b64 v15, v[8:9]
; %bb.10:                               ;   in Loop: Header=BB25_8 Depth=1
	s_andn2_saveexec_b64 s[28:29], s[28:29]
	s_cbranch_execz .LBB25_15
; %bb.11:                               ;   in Loop: Header=BB25_8 Depth=1
	s_load_dword s7, s[12:13], 0x0
	s_mov_b64 s[34:35], -1
	s_and_b64 vcc, exec, s[16:17]
	s_waitcnt lgkmcnt(0)
	s_sub_i32 s7, s7, s20
	s_mul_i32 s30, s7, 3
	s_cbranch_vccz .LBB25_13
; %bb.12:                               ;   in Loop: Header=BB25_8 Depth=1
	v_add_u32_e32 v1, s30, v0
	v_ashrrev_i32_e32 v9, 31, v1
	v_mul_lo_u32 v11, s9, v1
	v_mad_u64_u32 v[22:23], s[34:35], s8, v1, 0
	v_mul_lo_u32 v1, s8, v9
	s_mov_b64 s[34:35], 0
	v_add3_u32 v23, v23, v1, v11
	v_lshlrev_b64 v[22:23], 3, v[22:23]
	v_add_co_u32_e32 v22, vcc, v13, v22
	v_addc_co_u32_e32 v23, vcc, v14, v23, vcc
	global_load_dwordx2 v[22:23], v[22:23], off
	s_waitcnt vmcnt(0)
	ds_write_b64 v15, v[22:23]
.LBB25_13:                              ;   in Loop: Header=BB25_8 Depth=1
	s_andn2_b64 vcc, exec, s[34:35]
	s_cbranch_vccnz .LBB25_15
; %bb.14:                               ;   in Loop: Header=BB25_8 Depth=1
	s_ashr_i32 s31, s30, 31
	s_lshl_b64 s[30:31], s[30:31], 3
	v_mov_b32_e32 v1, s31
	v_add_co_u32_e32 v22, vcc, s30, v16
	v_addc_co_u32_e32 v23, vcc, v17, v1, vcc
	global_load_dwordx2 v[22:23], v[22:23], off
	s_waitcnt vmcnt(0)
	ds_write_b64 v15, v[22:23]
.LBB25_15:                              ;   in Loop: Header=BB25_8 Depth=1
	s_or_b64 exec, exec, s[28:29]
	s_and_saveexec_b64 s[28:29], s[26:27]
	s_cbranch_execz .LBB25_7
; %bb.16:                               ;   in Loop: Header=BB25_8 Depth=1
	v_ashrrev_i32_e32 v11, 31, v10
	v_lshlrev_b64 v[22:23], 3, v[10:11]
	v_mov_b32_e32 v1, s15
	v_add_co_u32_e32 v22, vcc, s14, v22
	v_addc_co_u32_e32 v23, vcc, v1, v23, vcc
	global_load_dwordx2 v[22:23], v[22:23], off
	s_waitcnt vmcnt(0)
	ds_write_b64 v19, v[22:23]
	s_branch .LBB25_7
.LBB25_17:
	s_and_b64 s[0:1], s[2:3], s[0:1]
	s_and_b64 s[0:1], s[22:23], s[0:1]
	s_and_b64 exec, exec, s[0:1]
	s_cbranch_execz .LBB25_22
; %bb.18:
	s_load_dwordx2 s[0:1], s[4:5], 0x58
	v_add_u32_e32 v8, s6, v0
	v_cmp_neq_f32_e32 vcc, 0, v2
	v_ashrrev_i32_e32 v9, 31, v8
	s_waitcnt lgkmcnt(0)
	v_mul_lo_u32 v0, s1, v6
	v_mul_lo_u32 v1, s0, v7
	v_mad_u64_u32 v[6:7], s[0:1], s0, v6, 0
	v_cmp_neq_f32_e64 s[0:1], 0, v3
	s_or_b64 s[0:1], vcc, s[0:1]
	v_add3_u32 v7, v7, v1, v0
	v_mul_f32_e64 v0, v12, -v5
	v_mul_f32_e32 v1, v4, v12
	v_lshlrev_b64 v[6:7], 3, v[6:7]
	v_fmac_f32_e32 v0, v4, v18
	v_fmac_f32_e32 v1, v5, v18
	s_and_saveexec_b64 s[2:3], s[0:1]
	s_xor_b64 s[0:1], exec, s[2:3]
	s_cbranch_execz .LBB25_20
; %bb.19:
	v_mov_b32_e32 v4, s11
	v_add_co_u32_e32 v6, vcc, s10, v6
	v_addc_co_u32_e32 v7, vcc, v4, v7, vcc
	v_lshlrev_b64 v[4:5], 3, v[8:9]
                                        ; implicit-def: $vgpr8
	v_add_co_u32_e32 v4, vcc, v6, v4
	v_addc_co_u32_e32 v5, vcc, v7, v5, vcc
	global_load_dwordx2 v[6:7], v[4:5], off
	s_waitcnt vmcnt(0)
	v_fmac_f32_e32 v0, v2, v6
	v_fmac_f32_e32 v1, v3, v6
	v_fma_f32 v0, -v3, v7, v0
	v_fmac_f32_e32 v1, v2, v7
	global_store_dwordx2 v[4:5], v[0:1], off
                                        ; implicit-def: $vgpr6_vgpr7
                                        ; implicit-def: $vgpr0
.LBB25_20:
	s_andn2_saveexec_b64 s[0:1], s[0:1]
	s_cbranch_execz .LBB25_22
; %bb.21:
	v_mov_b32_e32 v2, s11
	v_add_co_u32_e32 v4, vcc, s10, v6
	v_addc_co_u32_e32 v5, vcc, v2, v7, vcc
	v_lshlrev_b64 v[2:3], 3, v[8:9]
	v_add_co_u32_e32 v2, vcc, v4, v2
	v_addc_co_u32_e32 v3, vcc, v5, v3, vcc
	global_store_dwordx2 v[2:3], v[0:1], off
.LBB25_22:
	s_endpgm
	.section	.rodata,"a",@progbits
	.p2align	6, 0x0
	.amdhsa_kernel _ZN9rocsparseL29gebsrmm_small_blockdim_kernelILi1ELi3ELi3ELi16E21rocsparse_complex_numIfEEEv20rocsparse_direction_20rocsparse_operation_iiNS_24const_host_device_scalarIT3_EEPKiS9_PKS6_iiSB_lS7_PS6_l21rocsparse_index_base_b
		.amdhsa_group_segment_fixed_size 456
		.amdhsa_private_segment_fixed_size 0
		.amdhsa_kernarg_size 104
		.amdhsa_user_sgpr_count 6
		.amdhsa_user_sgpr_private_segment_buffer 1
		.amdhsa_user_sgpr_dispatch_ptr 0
		.amdhsa_user_sgpr_queue_ptr 0
		.amdhsa_user_sgpr_kernarg_segment_ptr 1
		.amdhsa_user_sgpr_dispatch_id 0
		.amdhsa_user_sgpr_flat_scratch_init 0
		.amdhsa_user_sgpr_private_segment_size 0
		.amdhsa_uses_dynamic_stack 0
		.amdhsa_system_sgpr_private_segment_wavefront_offset 0
		.amdhsa_system_sgpr_workgroup_id_x 1
		.amdhsa_system_sgpr_workgroup_id_y 1
		.amdhsa_system_sgpr_workgroup_id_z 0
		.amdhsa_system_sgpr_workgroup_info 0
		.amdhsa_system_vgpr_workitem_id 1
		.amdhsa_next_free_vgpr 32
		.amdhsa_next_free_sgpr 36
		.amdhsa_reserve_vcc 1
		.amdhsa_reserve_flat_scratch 0
		.amdhsa_float_round_mode_32 0
		.amdhsa_float_round_mode_16_64 0
		.amdhsa_float_denorm_mode_32 3
		.amdhsa_float_denorm_mode_16_64 3
		.amdhsa_dx10_clamp 1
		.amdhsa_ieee_mode 1
		.amdhsa_fp16_overflow 0
		.amdhsa_exception_fp_ieee_invalid_op 0
		.amdhsa_exception_fp_denorm_src 0
		.amdhsa_exception_fp_ieee_div_zero 0
		.amdhsa_exception_fp_ieee_overflow 0
		.amdhsa_exception_fp_ieee_underflow 0
		.amdhsa_exception_fp_ieee_inexact 0
		.amdhsa_exception_int_div_zero 0
	.end_amdhsa_kernel
	.section	.text._ZN9rocsparseL29gebsrmm_small_blockdim_kernelILi1ELi3ELi3ELi16E21rocsparse_complex_numIfEEEv20rocsparse_direction_20rocsparse_operation_iiNS_24const_host_device_scalarIT3_EEPKiS9_PKS6_iiSB_lS7_PS6_l21rocsparse_index_base_b,"axG",@progbits,_ZN9rocsparseL29gebsrmm_small_blockdim_kernelILi1ELi3ELi3ELi16E21rocsparse_complex_numIfEEEv20rocsparse_direction_20rocsparse_operation_iiNS_24const_host_device_scalarIT3_EEPKiS9_PKS6_iiSB_lS7_PS6_l21rocsparse_index_base_b,comdat
.Lfunc_end25:
	.size	_ZN9rocsparseL29gebsrmm_small_blockdim_kernelILi1ELi3ELi3ELi16E21rocsparse_complex_numIfEEEv20rocsparse_direction_20rocsparse_operation_iiNS_24const_host_device_scalarIT3_EEPKiS9_PKS6_iiSB_lS7_PS6_l21rocsparse_index_base_b, .Lfunc_end25-_ZN9rocsparseL29gebsrmm_small_blockdim_kernelILi1ELi3ELi3ELi16E21rocsparse_complex_numIfEEEv20rocsparse_direction_20rocsparse_operation_iiNS_24const_host_device_scalarIT3_EEPKiS9_PKS6_iiSB_lS7_PS6_l21rocsparse_index_base_b
                                        ; -- End function
	.set _ZN9rocsparseL29gebsrmm_small_blockdim_kernelILi1ELi3ELi3ELi16E21rocsparse_complex_numIfEEEv20rocsparse_direction_20rocsparse_operation_iiNS_24const_host_device_scalarIT3_EEPKiS9_PKS6_iiSB_lS7_PS6_l21rocsparse_index_base_b.num_vgpr, 32
	.set _ZN9rocsparseL29gebsrmm_small_blockdim_kernelILi1ELi3ELi3ELi16E21rocsparse_complex_numIfEEEv20rocsparse_direction_20rocsparse_operation_iiNS_24const_host_device_scalarIT3_EEPKiS9_PKS6_iiSB_lS7_PS6_l21rocsparse_index_base_b.num_agpr, 0
	.set _ZN9rocsparseL29gebsrmm_small_blockdim_kernelILi1ELi3ELi3ELi16E21rocsparse_complex_numIfEEEv20rocsparse_direction_20rocsparse_operation_iiNS_24const_host_device_scalarIT3_EEPKiS9_PKS6_iiSB_lS7_PS6_l21rocsparse_index_base_b.numbered_sgpr, 36
	.set _ZN9rocsparseL29gebsrmm_small_blockdim_kernelILi1ELi3ELi3ELi16E21rocsparse_complex_numIfEEEv20rocsparse_direction_20rocsparse_operation_iiNS_24const_host_device_scalarIT3_EEPKiS9_PKS6_iiSB_lS7_PS6_l21rocsparse_index_base_b.num_named_barrier, 0
	.set _ZN9rocsparseL29gebsrmm_small_blockdim_kernelILi1ELi3ELi3ELi16E21rocsparse_complex_numIfEEEv20rocsparse_direction_20rocsparse_operation_iiNS_24const_host_device_scalarIT3_EEPKiS9_PKS6_iiSB_lS7_PS6_l21rocsparse_index_base_b.private_seg_size, 0
	.set _ZN9rocsparseL29gebsrmm_small_blockdim_kernelILi1ELi3ELi3ELi16E21rocsparse_complex_numIfEEEv20rocsparse_direction_20rocsparse_operation_iiNS_24const_host_device_scalarIT3_EEPKiS9_PKS6_iiSB_lS7_PS6_l21rocsparse_index_base_b.uses_vcc, 1
	.set _ZN9rocsparseL29gebsrmm_small_blockdim_kernelILi1ELi3ELi3ELi16E21rocsparse_complex_numIfEEEv20rocsparse_direction_20rocsparse_operation_iiNS_24const_host_device_scalarIT3_EEPKiS9_PKS6_iiSB_lS7_PS6_l21rocsparse_index_base_b.uses_flat_scratch, 0
	.set _ZN9rocsparseL29gebsrmm_small_blockdim_kernelILi1ELi3ELi3ELi16E21rocsparse_complex_numIfEEEv20rocsparse_direction_20rocsparse_operation_iiNS_24const_host_device_scalarIT3_EEPKiS9_PKS6_iiSB_lS7_PS6_l21rocsparse_index_base_b.has_dyn_sized_stack, 0
	.set _ZN9rocsparseL29gebsrmm_small_blockdim_kernelILi1ELi3ELi3ELi16E21rocsparse_complex_numIfEEEv20rocsparse_direction_20rocsparse_operation_iiNS_24const_host_device_scalarIT3_EEPKiS9_PKS6_iiSB_lS7_PS6_l21rocsparse_index_base_b.has_recursion, 0
	.set _ZN9rocsparseL29gebsrmm_small_blockdim_kernelILi1ELi3ELi3ELi16E21rocsparse_complex_numIfEEEv20rocsparse_direction_20rocsparse_operation_iiNS_24const_host_device_scalarIT3_EEPKiS9_PKS6_iiSB_lS7_PS6_l21rocsparse_index_base_b.has_indirect_call, 0
	.section	.AMDGPU.csdata,"",@progbits
; Kernel info:
; codeLenInByte = 1128
; TotalNumSgprs: 40
; NumVgprs: 32
; ScratchSize: 0
; MemoryBound: 0
; FloatMode: 240
; IeeeMode: 1
; LDSByteSize: 456 bytes/workgroup (compile time only)
; SGPRBlocks: 4
; VGPRBlocks: 7
; NumSGPRsForWavesPerEU: 40
; NumVGPRsForWavesPerEU: 32
; Occupancy: 8
; WaveLimiterHint : 1
; COMPUTE_PGM_RSRC2:SCRATCH_EN: 0
; COMPUTE_PGM_RSRC2:USER_SGPR: 6
; COMPUTE_PGM_RSRC2:TRAP_HANDLER: 0
; COMPUTE_PGM_RSRC2:TGID_X_EN: 1
; COMPUTE_PGM_RSRC2:TGID_Y_EN: 1
; COMPUTE_PGM_RSRC2:TGID_Z_EN: 0
; COMPUTE_PGM_RSRC2:TIDIG_COMP_CNT: 1
	.section	.text._ZN9rocsparseL29gebsrmm_small_blockdim_kernelILi1ELi4ELi4ELi16E21rocsparse_complex_numIfEEEv20rocsparse_direction_20rocsparse_operation_iiNS_24const_host_device_scalarIT3_EEPKiS9_PKS6_iiSB_lS7_PS6_l21rocsparse_index_base_b,"axG",@progbits,_ZN9rocsparseL29gebsrmm_small_blockdim_kernelILi1ELi4ELi4ELi16E21rocsparse_complex_numIfEEEv20rocsparse_direction_20rocsparse_operation_iiNS_24const_host_device_scalarIT3_EEPKiS9_PKS6_iiSB_lS7_PS6_l21rocsparse_index_base_b,comdat
	.globl	_ZN9rocsparseL29gebsrmm_small_blockdim_kernelILi1ELi4ELi4ELi16E21rocsparse_complex_numIfEEEv20rocsparse_direction_20rocsparse_operation_iiNS_24const_host_device_scalarIT3_EEPKiS9_PKS6_iiSB_lS7_PS6_l21rocsparse_index_base_b ; -- Begin function _ZN9rocsparseL29gebsrmm_small_blockdim_kernelILi1ELi4ELi4ELi16E21rocsparse_complex_numIfEEEv20rocsparse_direction_20rocsparse_operation_iiNS_24const_host_device_scalarIT3_EEPKiS9_PKS6_iiSB_lS7_PS6_l21rocsparse_index_base_b
	.p2align	8
	.type	_ZN9rocsparseL29gebsrmm_small_blockdim_kernelILi1ELi4ELi4ELi16E21rocsparse_complex_numIfEEEv20rocsparse_direction_20rocsparse_operation_iiNS_24const_host_device_scalarIT3_EEPKiS9_PKS6_iiSB_lS7_PS6_l21rocsparse_index_base_b,@function
_ZN9rocsparseL29gebsrmm_small_blockdim_kernelILi1ELi4ELi4ELi16E21rocsparse_complex_numIfEEEv20rocsparse_direction_20rocsparse_operation_iiNS_24const_host_device_scalarIT3_EEPKiS9_PKS6_iiSB_lS7_PS6_l21rocsparse_index_base_b: ; @_ZN9rocsparseL29gebsrmm_small_blockdim_kernelILi1ELi4ELi4ELi16E21rocsparse_complex_numIfEEEv20rocsparse_direction_20rocsparse_operation_iiNS_24const_host_device_scalarIT3_EEPKiS9_PKS6_iiSB_lS7_PS6_l21rocsparse_index_base_b
; %bb.0:
	s_load_dwordx2 s[0:1], s[4:5], 0x10
	s_load_dwordx4 s[8:11], s[4:5], 0x40
	s_load_dwordx2 s[20:21], s[4:5], 0x60
	s_add_u32 s2, s4, 16
	s_addc_u32 s3, s5, 0
	s_add_u32 s12, s4, 0x48
	s_addc_u32 s13, s5, 0
	s_waitcnt lgkmcnt(0)
	s_bitcmp1_b32 s21, 0
	s_cselect_b32 s1, s3, s1
	s_cselect_b32 s0, s2, s0
	v_mov_b32_e32 v2, s0
	v_mov_b32_e32 v3, s1
	flat_load_dwordx2 v[4:5], v[2:3]
	s_cselect_b32 s0, s13, s11
	s_cselect_b32 s1, s12, s10
	v_mov_b32_e32 v2, s1
	v_mov_b32_e32 v3, s0
	flat_load_dwordx2 v[2:3], v[2:3]
	s_waitcnt vmcnt(0) lgkmcnt(0)
	v_cmp_eq_f32_e32 vcc, 0, v4
	v_cmp_eq_f32_e64 s[0:1], 0, v5
	s_and_b64 s[10:11], vcc, s[0:1]
	s_mov_b64 s[0:1], -1
	s_and_saveexec_b64 s[2:3], s[10:11]
; %bb.1:
	v_cmp_neq_f32_e32 vcc, 1.0, v2
	v_cmp_neq_f32_e64 s[0:1], 0, v3
	s_or_b64 s[0:1], vcc, s[0:1]
	s_orn2_b64 s[0:1], s[0:1], exec
; %bb.2:
	s_or_b64 exec, exec, s[2:3]
	s_and_saveexec_b64 s[2:3], s[0:1]
	s_cbranch_execz .LBB26_22
; %bb.3:
	s_load_dwordx4 s[16:19], s[4:5], 0x4
	s_mov_b32 s21, 0
	s_mov_b32 s24, 0
	s_waitcnt lgkmcnt(0)
	s_cmp_lt_i32 s6, s17
	s_cselect_b64 s[22:23], -1, 0
	s_cmp_ge_i32 s6, s17
	s_cbranch_scc1 .LBB26_5
; %bb.4:
	s_load_dwordx2 s[2:3], s[4:5], 0x18
	s_mov_b32 s0, s7
	s_ashr_i32 s7, s6, 31
	s_lshl_b64 s[10:11], s[6:7], 2
	s_mov_b32 s7, s0
	s_waitcnt lgkmcnt(0)
	s_add_u32 s0, s2, s10
	s_addc_u32 s1, s3, s11
	s_load_dwordx2 s[2:3], s[0:1], 0x0
	s_waitcnt lgkmcnt(0)
	s_sub_i32 s24, s2, s20
	s_sub_i32 s21, s3, s20
.LBB26_5:
	s_load_dwordx2 s[10:11], s[4:5], 0x50
	v_lshl_add_u32 v6, s7, 4, v1
	v_ashrrev_i32_e32 v7, 31, v6
	v_cmp_gt_i32_e64 s[0:1], s18, v6
	v_cmp_eq_u32_e64 s[2:3], 0, v0
	v_mov_b32_e32 v12, 0
	s_cmp_ge_i32 s24, s21
	v_mov_b32_e32 v16, 0
	s_cbranch_scc1 .LBB26_17
; %bb.6:
	s_load_dwordx4 s[12:15], s[4:5], 0x20
	s_load_dwordx2 s[28:29], s[4:5], 0x38
	v_mul_lo_u32 v15, s9, v6
	v_mul_lo_u32 v16, s8, v7
	v_mad_u64_u32 v[10:11], s[30:31], s8, v6, 0
	v_cmp_lt_u32_e32 vcc, 3, v0
	s_xor_b64 s[18:19], s[0:1], -1
	v_lshlrev_b64 v[8:9], 3, v[6:7]
	s_or_b64 s[18:19], s[18:19], vcc
	v_cmp_gt_u32_e32 vcc, 4, v1
	s_and_b64 s[26:27], s[2:3], vcc
	s_waitcnt lgkmcnt(0)
	v_mov_b32_e32 v12, s29
	v_add_co_u32_e32 v13, vcc, s28, v8
	v_add3_u32 v11, v11, v16, v15
	v_lshlrev_b32_e32 v8, 2, v1
	v_addc_co_u32_e32 v14, vcc, v12, v9, vcc
	v_add_lshl_u32 v15, v8, v0, 3
	v_lshlrev_b64 v[8:9], 3, v[10:11]
	s_cmpk_lg_i32 s16, 0x6f
	s_cselect_b64 s[16:17], -1, 0
	v_mov_b32_e32 v10, s29
	v_add_co_u32_e32 v11, vcc, s28, v8
	s_ashr_i32 s25, s24, 31
	v_addc_co_u32_e32 v9, vcc, v10, v9, vcc
	v_lshlrev_b32_e32 v10, 3, v0
	s_lshl_b64 s[28:29], s[24:25], 2
	v_add_co_u32_e32 v17, vcc, v11, v10
	s_add_u32 s12, s12, s28
	v_mov_b32_e32 v8, 0
	v_addc_co_u32_e32 v18, vcc, 0, v9, vcc
	v_add_u32_e32 v19, 0x200, v15
	v_add_u32_e32 v20, 0x200, v10
	v_lshlrev_b32_e32 v21, 5, v1
	s_addc_u32 s13, s13, s29
	v_lshl_add_u32 v10, s24, 2, v1
	v_mov_b32_e32 v12, 0
	v_mov_b32_e32 v16, 0
	s_branch .LBB26_8
.LBB26_7:                               ;   in Loop: Header=BB26_8 Depth=1
	s_or_b64 exec, exec, s[28:29]
	s_waitcnt lgkmcnt(0)
	; wave barrier
	ds_read2_b64 v[22:25], v20 offset1:4
	ds_read_b128 v[26:29], v21
	ds_read_b128 v[30:33], v21 offset:16
	ds_read2_b64 v[34:37], v20 offset0:8 offset1:12
	s_add_i32 s24, s24, 1
	s_add_u32 s12, s12, 4
	s_waitcnt lgkmcnt(2)
	v_fmac_f32_e32 v16, v22, v26
	v_fmac_f32_e32 v12, v23, v26
	v_fma_f32 v1, -v23, v27, v16
	v_fmac_f32_e32 v12, v22, v27
	v_fmac_f32_e32 v1, v24, v28
	;; [unrolled: 1-line block ×3, first 2 shown]
	v_fma_f32 v1, -v25, v29, v1
	v_fmac_f32_e32 v12, v24, v29
	s_waitcnt lgkmcnt(0)
	v_fmac_f32_e32 v1, v34, v30
	v_fmac_f32_e32 v12, v35, v30
	v_fma_f32 v1, -v35, v31, v1
	v_fmac_f32_e32 v12, v34, v31
	v_fmac_f32_e32 v1, v36, v32
	;; [unrolled: 1-line block ×3, first 2 shown]
	s_addc_u32 s13, s13, 0
	v_fma_f32 v16, -v37, v33, v1
	v_fmac_f32_e32 v12, v36, v33
	s_cmp_ge_i32 s24, s21
	v_add_u32_e32 v10, 4, v10
	; wave barrier
	s_cbranch_scc1 .LBB26_17
.LBB26_8:                               ; =>This Inner Loop Header: Depth=1
	s_and_saveexec_b64 s[28:29], s[18:19]
	s_xor_b64 s[28:29], exec, s[28:29]
; %bb.9:                                ;   in Loop: Header=BB26_8 Depth=1
	v_mov_b32_e32 v9, v8
	ds_write_b64 v15, v[8:9]
; %bb.10:                               ;   in Loop: Header=BB26_8 Depth=1
	s_andn2_saveexec_b64 s[28:29], s[28:29]
	s_cbranch_execz .LBB26_15
; %bb.11:                               ;   in Loop: Header=BB26_8 Depth=1
	s_load_dword s7, s[12:13], 0x0
	s_mov_b64 s[34:35], -1
	s_and_b64 vcc, exec, s[16:17]
	s_waitcnt lgkmcnt(0)
	s_sub_i32 s7, s7, s20
	s_lshl_b32 s30, s7, 2
	s_cbranch_vccz .LBB26_13
; %bb.12:                               ;   in Loop: Header=BB26_8 Depth=1
	v_or_b32_e32 v1, s30, v0
	v_mul_lo_u32 v9, s9, v1
	v_mad_u64_u32 v[22:23], s[34:35], s8, v1, 0
	s_ashr_i32 s7, s30, 31
	s_mul_i32 s7, s8, s7
	v_add3_u32 v23, v23, s7, v9
	v_lshlrev_b64 v[22:23], 3, v[22:23]
	s_mov_b64 s[34:35], 0
	v_add_co_u32_e32 v22, vcc, v13, v22
	v_addc_co_u32_e32 v23, vcc, v14, v23, vcc
	global_load_dwordx2 v[22:23], v[22:23], off
	s_waitcnt vmcnt(0)
	ds_write_b64 v15, v[22:23]
.LBB26_13:                              ;   in Loop: Header=BB26_8 Depth=1
	s_andn2_b64 vcc, exec, s[34:35]
	s_cbranch_vccnz .LBB26_15
; %bb.14:                               ;   in Loop: Header=BB26_8 Depth=1
	s_ashr_i32 s31, s30, 31
	s_lshl_b64 s[30:31], s[30:31], 3
	v_mov_b32_e32 v1, s31
	v_add_co_u32_e32 v22, vcc, s30, v17
	v_addc_co_u32_e32 v23, vcc, v18, v1, vcc
	global_load_dwordx2 v[22:23], v[22:23], off
	s_waitcnt vmcnt(0)
	ds_write_b64 v15, v[22:23]
.LBB26_15:                              ;   in Loop: Header=BB26_8 Depth=1
	s_or_b64 exec, exec, s[28:29]
	s_and_saveexec_b64 s[28:29], s[26:27]
	s_cbranch_execz .LBB26_7
; %bb.16:                               ;   in Loop: Header=BB26_8 Depth=1
	v_ashrrev_i32_e32 v11, 31, v10
	v_lshlrev_b64 v[22:23], 3, v[10:11]
	v_mov_b32_e32 v1, s15
	v_add_co_u32_e32 v22, vcc, s14, v22
	v_addc_co_u32_e32 v23, vcc, v1, v23, vcc
	global_load_dwordx2 v[22:23], v[22:23], off
	s_waitcnt vmcnt(0)
	ds_write_b64 v19, v[22:23]
	s_branch .LBB26_7
.LBB26_17:
	s_and_b64 s[0:1], s[2:3], s[0:1]
	s_and_b64 s[0:1], s[22:23], s[0:1]
	s_and_b64 exec, exec, s[0:1]
	s_cbranch_execz .LBB26_22
; %bb.18:
	s_load_dwordx2 s[0:1], s[4:5], 0x58
	v_add_u32_e32 v8, s6, v0
	v_cmp_neq_f32_e32 vcc, 0, v2
	v_ashrrev_i32_e32 v9, 31, v8
	s_waitcnt lgkmcnt(0)
	v_mul_lo_u32 v0, s1, v6
	v_mul_lo_u32 v1, s0, v7
	v_mad_u64_u32 v[6:7], s[0:1], s0, v6, 0
	v_cmp_neq_f32_e64 s[0:1], 0, v3
	s_or_b64 s[0:1], vcc, s[0:1]
	v_add3_u32 v7, v7, v1, v0
	v_mul_f32_e64 v0, v12, -v5
	v_mul_f32_e32 v1, v4, v12
	v_lshlrev_b64 v[6:7], 3, v[6:7]
	v_fmac_f32_e32 v0, v4, v16
	v_fmac_f32_e32 v1, v5, v16
	s_and_saveexec_b64 s[2:3], s[0:1]
	s_xor_b64 s[0:1], exec, s[2:3]
	s_cbranch_execz .LBB26_20
; %bb.19:
	v_mov_b32_e32 v4, s11
	v_add_co_u32_e32 v6, vcc, s10, v6
	v_addc_co_u32_e32 v7, vcc, v4, v7, vcc
	v_lshlrev_b64 v[4:5], 3, v[8:9]
                                        ; implicit-def: $vgpr8
	v_add_co_u32_e32 v4, vcc, v6, v4
	v_addc_co_u32_e32 v5, vcc, v7, v5, vcc
	global_load_dwordx2 v[6:7], v[4:5], off
	s_waitcnt vmcnt(0)
	v_fmac_f32_e32 v0, v2, v6
	v_fmac_f32_e32 v1, v3, v6
	v_fma_f32 v0, -v3, v7, v0
	v_fmac_f32_e32 v1, v2, v7
	global_store_dwordx2 v[4:5], v[0:1], off
                                        ; implicit-def: $vgpr6_vgpr7
                                        ; implicit-def: $vgpr0
.LBB26_20:
	s_andn2_saveexec_b64 s[0:1], s[0:1]
	s_cbranch_execz .LBB26_22
; %bb.21:
	v_mov_b32_e32 v2, s11
	v_add_co_u32_e32 v4, vcc, s10, v6
	v_addc_co_u32_e32 v5, vcc, v2, v7, vcc
	v_lshlrev_b64 v[2:3], 3, v[8:9]
	v_add_co_u32_e32 v2, vcc, v4, v2
	v_addc_co_u32_e32 v3, vcc, v5, v3, vcc
	global_store_dwordx2 v[2:3], v[0:1], off
.LBB26_22:
	s_endpgm
	.section	.rodata,"a",@progbits
	.p2align	6, 0x0
	.amdhsa_kernel _ZN9rocsparseL29gebsrmm_small_blockdim_kernelILi1ELi4ELi4ELi16E21rocsparse_complex_numIfEEEv20rocsparse_direction_20rocsparse_operation_iiNS_24const_host_device_scalarIT3_EEPKiS9_PKS6_iiSB_lS7_PS6_l21rocsparse_index_base_b
		.amdhsa_group_segment_fixed_size 640
		.amdhsa_private_segment_fixed_size 0
		.amdhsa_kernarg_size 104
		.amdhsa_user_sgpr_count 6
		.amdhsa_user_sgpr_private_segment_buffer 1
		.amdhsa_user_sgpr_dispatch_ptr 0
		.amdhsa_user_sgpr_queue_ptr 0
		.amdhsa_user_sgpr_kernarg_segment_ptr 1
		.amdhsa_user_sgpr_dispatch_id 0
		.amdhsa_user_sgpr_flat_scratch_init 0
		.amdhsa_user_sgpr_private_segment_size 0
		.amdhsa_uses_dynamic_stack 0
		.amdhsa_system_sgpr_private_segment_wavefront_offset 0
		.amdhsa_system_sgpr_workgroup_id_x 1
		.amdhsa_system_sgpr_workgroup_id_y 1
		.amdhsa_system_sgpr_workgroup_id_z 0
		.amdhsa_system_sgpr_workgroup_info 0
		.amdhsa_system_vgpr_workitem_id 1
		.amdhsa_next_free_vgpr 38
		.amdhsa_next_free_sgpr 36
		.amdhsa_reserve_vcc 1
		.amdhsa_reserve_flat_scratch 0
		.amdhsa_float_round_mode_32 0
		.amdhsa_float_round_mode_16_64 0
		.amdhsa_float_denorm_mode_32 3
		.amdhsa_float_denorm_mode_16_64 3
		.amdhsa_dx10_clamp 1
		.amdhsa_ieee_mode 1
		.amdhsa_fp16_overflow 0
		.amdhsa_exception_fp_ieee_invalid_op 0
		.amdhsa_exception_fp_denorm_src 0
		.amdhsa_exception_fp_ieee_div_zero 0
		.amdhsa_exception_fp_ieee_overflow 0
		.amdhsa_exception_fp_ieee_underflow 0
		.amdhsa_exception_fp_ieee_inexact 0
		.amdhsa_exception_int_div_zero 0
	.end_amdhsa_kernel
	.section	.text._ZN9rocsparseL29gebsrmm_small_blockdim_kernelILi1ELi4ELi4ELi16E21rocsparse_complex_numIfEEEv20rocsparse_direction_20rocsparse_operation_iiNS_24const_host_device_scalarIT3_EEPKiS9_PKS6_iiSB_lS7_PS6_l21rocsparse_index_base_b,"axG",@progbits,_ZN9rocsparseL29gebsrmm_small_blockdim_kernelILi1ELi4ELi4ELi16E21rocsparse_complex_numIfEEEv20rocsparse_direction_20rocsparse_operation_iiNS_24const_host_device_scalarIT3_EEPKiS9_PKS6_iiSB_lS7_PS6_l21rocsparse_index_base_b,comdat
.Lfunc_end26:
	.size	_ZN9rocsparseL29gebsrmm_small_blockdim_kernelILi1ELi4ELi4ELi16E21rocsparse_complex_numIfEEEv20rocsparse_direction_20rocsparse_operation_iiNS_24const_host_device_scalarIT3_EEPKiS9_PKS6_iiSB_lS7_PS6_l21rocsparse_index_base_b, .Lfunc_end26-_ZN9rocsparseL29gebsrmm_small_blockdim_kernelILi1ELi4ELi4ELi16E21rocsparse_complex_numIfEEEv20rocsparse_direction_20rocsparse_operation_iiNS_24const_host_device_scalarIT3_EEPKiS9_PKS6_iiSB_lS7_PS6_l21rocsparse_index_base_b
                                        ; -- End function
	.set _ZN9rocsparseL29gebsrmm_small_blockdim_kernelILi1ELi4ELi4ELi16E21rocsparse_complex_numIfEEEv20rocsparse_direction_20rocsparse_operation_iiNS_24const_host_device_scalarIT3_EEPKiS9_PKS6_iiSB_lS7_PS6_l21rocsparse_index_base_b.num_vgpr, 38
	.set _ZN9rocsparseL29gebsrmm_small_blockdim_kernelILi1ELi4ELi4ELi16E21rocsparse_complex_numIfEEEv20rocsparse_direction_20rocsparse_operation_iiNS_24const_host_device_scalarIT3_EEPKiS9_PKS6_iiSB_lS7_PS6_l21rocsparse_index_base_b.num_agpr, 0
	.set _ZN9rocsparseL29gebsrmm_small_blockdim_kernelILi1ELi4ELi4ELi16E21rocsparse_complex_numIfEEEv20rocsparse_direction_20rocsparse_operation_iiNS_24const_host_device_scalarIT3_EEPKiS9_PKS6_iiSB_lS7_PS6_l21rocsparse_index_base_b.numbered_sgpr, 36
	.set _ZN9rocsparseL29gebsrmm_small_blockdim_kernelILi1ELi4ELi4ELi16E21rocsparse_complex_numIfEEEv20rocsparse_direction_20rocsparse_operation_iiNS_24const_host_device_scalarIT3_EEPKiS9_PKS6_iiSB_lS7_PS6_l21rocsparse_index_base_b.num_named_barrier, 0
	.set _ZN9rocsparseL29gebsrmm_small_blockdim_kernelILi1ELi4ELi4ELi16E21rocsparse_complex_numIfEEEv20rocsparse_direction_20rocsparse_operation_iiNS_24const_host_device_scalarIT3_EEPKiS9_PKS6_iiSB_lS7_PS6_l21rocsparse_index_base_b.private_seg_size, 0
	.set _ZN9rocsparseL29gebsrmm_small_blockdim_kernelILi1ELi4ELi4ELi16E21rocsparse_complex_numIfEEEv20rocsparse_direction_20rocsparse_operation_iiNS_24const_host_device_scalarIT3_EEPKiS9_PKS6_iiSB_lS7_PS6_l21rocsparse_index_base_b.uses_vcc, 1
	.set _ZN9rocsparseL29gebsrmm_small_blockdim_kernelILi1ELi4ELi4ELi16E21rocsparse_complex_numIfEEEv20rocsparse_direction_20rocsparse_operation_iiNS_24const_host_device_scalarIT3_EEPKiS9_PKS6_iiSB_lS7_PS6_l21rocsparse_index_base_b.uses_flat_scratch, 0
	.set _ZN9rocsparseL29gebsrmm_small_blockdim_kernelILi1ELi4ELi4ELi16E21rocsparse_complex_numIfEEEv20rocsparse_direction_20rocsparse_operation_iiNS_24const_host_device_scalarIT3_EEPKiS9_PKS6_iiSB_lS7_PS6_l21rocsparse_index_base_b.has_dyn_sized_stack, 0
	.set _ZN9rocsparseL29gebsrmm_small_blockdim_kernelILi1ELi4ELi4ELi16E21rocsparse_complex_numIfEEEv20rocsparse_direction_20rocsparse_operation_iiNS_24const_host_device_scalarIT3_EEPKiS9_PKS6_iiSB_lS7_PS6_l21rocsparse_index_base_b.has_recursion, 0
	.set _ZN9rocsparseL29gebsrmm_small_blockdim_kernelILi1ELi4ELi4ELi16E21rocsparse_complex_numIfEEEv20rocsparse_direction_20rocsparse_operation_iiNS_24const_host_device_scalarIT3_EEPKiS9_PKS6_iiSB_lS7_PS6_l21rocsparse_index_base_b.has_indirect_call, 0
	.section	.AMDGPU.csdata,"",@progbits
; Kernel info:
; codeLenInByte = 1144
; TotalNumSgprs: 40
; NumVgprs: 38
; ScratchSize: 0
; MemoryBound: 0
; FloatMode: 240
; IeeeMode: 1
; LDSByteSize: 640 bytes/workgroup (compile time only)
; SGPRBlocks: 4
; VGPRBlocks: 9
; NumSGPRsForWavesPerEU: 40
; NumVGPRsForWavesPerEU: 38
; Occupancy: 6
; WaveLimiterHint : 1
; COMPUTE_PGM_RSRC2:SCRATCH_EN: 0
; COMPUTE_PGM_RSRC2:USER_SGPR: 6
; COMPUTE_PGM_RSRC2:TRAP_HANDLER: 0
; COMPUTE_PGM_RSRC2:TGID_X_EN: 1
; COMPUTE_PGM_RSRC2:TGID_Y_EN: 1
; COMPUTE_PGM_RSRC2:TGID_Z_EN: 0
; COMPUTE_PGM_RSRC2:TIDIG_COMP_CNT: 1
	.section	.text._ZN9rocsparseL29gebsrmm_small_blockdim_kernelILi2ELi1ELi2ELi16E21rocsparse_complex_numIfEEEv20rocsparse_direction_20rocsparse_operation_iiNS_24const_host_device_scalarIT3_EEPKiS9_PKS6_iiSB_lS7_PS6_l21rocsparse_index_base_b,"axG",@progbits,_ZN9rocsparseL29gebsrmm_small_blockdim_kernelILi2ELi1ELi2ELi16E21rocsparse_complex_numIfEEEv20rocsparse_direction_20rocsparse_operation_iiNS_24const_host_device_scalarIT3_EEPKiS9_PKS6_iiSB_lS7_PS6_l21rocsparse_index_base_b,comdat
	.globl	_ZN9rocsparseL29gebsrmm_small_blockdim_kernelILi2ELi1ELi2ELi16E21rocsparse_complex_numIfEEEv20rocsparse_direction_20rocsparse_operation_iiNS_24const_host_device_scalarIT3_EEPKiS9_PKS6_iiSB_lS7_PS6_l21rocsparse_index_base_b ; -- Begin function _ZN9rocsparseL29gebsrmm_small_blockdim_kernelILi2ELi1ELi2ELi16E21rocsparse_complex_numIfEEEv20rocsparse_direction_20rocsparse_operation_iiNS_24const_host_device_scalarIT3_EEPKiS9_PKS6_iiSB_lS7_PS6_l21rocsparse_index_base_b
	.p2align	8
	.type	_ZN9rocsparseL29gebsrmm_small_blockdim_kernelILi2ELi1ELi2ELi16E21rocsparse_complex_numIfEEEv20rocsparse_direction_20rocsparse_operation_iiNS_24const_host_device_scalarIT3_EEPKiS9_PKS6_iiSB_lS7_PS6_l21rocsparse_index_base_b,@function
_ZN9rocsparseL29gebsrmm_small_blockdim_kernelILi2ELi1ELi2ELi16E21rocsparse_complex_numIfEEEv20rocsparse_direction_20rocsparse_operation_iiNS_24const_host_device_scalarIT3_EEPKiS9_PKS6_iiSB_lS7_PS6_l21rocsparse_index_base_b: ; @_ZN9rocsparseL29gebsrmm_small_blockdim_kernelILi2ELi1ELi2ELi16E21rocsparse_complex_numIfEEEv20rocsparse_direction_20rocsparse_operation_iiNS_24const_host_device_scalarIT3_EEPKiS9_PKS6_iiSB_lS7_PS6_l21rocsparse_index_base_b
; %bb.0:
	s_load_dwordx2 s[0:1], s[4:5], 0x10
	s_load_dwordx4 s[8:11], s[4:5], 0x40
	s_load_dwordx2 s[20:21], s[4:5], 0x60
	s_add_u32 s2, s4, 16
	s_addc_u32 s3, s5, 0
	s_add_u32 s12, s4, 0x48
	s_addc_u32 s13, s5, 0
	s_waitcnt lgkmcnt(0)
	s_bitcmp1_b32 s21, 0
	s_cselect_b32 s1, s3, s1
	s_cselect_b32 s0, s2, s0
	v_mov_b32_e32 v2, s0
	v_mov_b32_e32 v3, s1
	flat_load_dwordx2 v[4:5], v[2:3]
	s_cselect_b32 s0, s13, s11
	s_cselect_b32 s1, s12, s10
	v_mov_b32_e32 v2, s1
	v_mov_b32_e32 v3, s0
	flat_load_dwordx2 v[2:3], v[2:3]
	s_waitcnt vmcnt(0) lgkmcnt(0)
	v_cmp_eq_f32_e32 vcc, 0, v4
	v_cmp_eq_f32_e64 s[0:1], 0, v5
	s_and_b64 s[10:11], vcc, s[0:1]
	s_mov_b64 s[0:1], -1
	s_and_saveexec_b64 s[2:3], s[10:11]
; %bb.1:
	v_cmp_neq_f32_e32 vcc, 1.0, v2
	v_cmp_neq_f32_e64 s[0:1], 0, v3
	s_or_b64 s[0:1], vcc, s[0:1]
	s_orn2_b64 s[0:1], s[0:1], exec
; %bb.2:
	s_or_b64 exec, exec, s[2:3]
	s_and_saveexec_b64 s[2:3], s[0:1]
	s_cbranch_execz .LBB27_22
; %bb.3:
	s_load_dwordx4 s[16:19], s[4:5], 0x4
	s_mov_b32 s21, 0
	s_mov_b32 s24, 0
	s_waitcnt lgkmcnt(0)
	s_cmp_lt_i32 s6, s17
	s_cselect_b64 s[22:23], -1, 0
	s_cmp_ge_i32 s6, s17
	s_cbranch_scc1 .LBB27_5
; %bb.4:
	s_load_dwordx2 s[2:3], s[4:5], 0x18
	s_mov_b32 s0, s7
	s_ashr_i32 s7, s6, 31
	s_lshl_b64 s[10:11], s[6:7], 2
	s_mov_b32 s7, s0
	s_waitcnt lgkmcnt(0)
	s_add_u32 s0, s2, s10
	s_addc_u32 s1, s3, s11
	s_load_dwordx2 s[2:3], s[0:1], 0x0
	s_waitcnt lgkmcnt(0)
	s_sub_i32 s24, s2, s20
	s_sub_i32 s21, s3, s20
.LBB27_5:
	s_load_dwordx2 s[10:11], s[4:5], 0x50
	v_lshl_add_u32 v6, s7, 4, v1
	v_ashrrev_i32_e32 v7, 31, v6
	v_cmp_gt_i32_e64 s[0:1], s18, v6
	v_cmp_gt_u32_e64 s[2:3], 2, v0
	v_mov_b32_e32 v12, 0
	s_cmp_ge_i32 s24, s21
	v_mov_b32_e32 v13, 0
	s_cbranch_scc1 .LBB27_17
; %bb.6:
	s_load_dwordx4 s[12:15], s[4:5], 0x20
	s_load_dwordx2 s[28:29], s[4:5], 0x38
	v_mul_lo_u32 v13, s9, v6
	v_mul_lo_u32 v16, s8, v7
	v_mad_u64_u32 v[10:11], s[30:31], s8, v6, 0
	v_cmp_ne_u32_e32 vcc, 0, v0
	s_xor_b64 s[18:19], s[0:1], -1
	v_lshlrev_b64 v[8:9], 3, v[6:7]
	s_or_b64 s[18:19], vcc, s[18:19]
	v_cmp_eq_u32_e32 vcc, 0, v1
	s_and_b64 s[26:27], s[2:3], vcc
	s_waitcnt lgkmcnt(0)
	v_mov_b32_e32 v12, s29
	v_add_co_u32_e32 v14, vcc, s28, v8
	v_add3_u32 v11, v11, v16, v13
	v_lshlrev_b32_e32 v8, 1, v1
	v_addc_co_u32_e32 v15, vcc, v12, v9, vcc
	v_add_lshl_u32 v16, v8, v0, 3
	s_cmpk_lg_i32 s16, 0x6f
	v_lshlrev_b64 v[8:9], 3, v[10:11]
	s_cselect_b64 s[16:17], -1, 0
	s_ashr_i32 s25, s24, 31
	v_mov_b32_e32 v10, s29
	v_add_co_u32_e32 v17, vcc, s28, v8
	s_lshl_b64 s[28:29], s[24:25], 2
	v_mov_b32_e32 v8, 0x100
	s_add_u32 s12, s12, s28
	v_addc_co_u32_e32 v18, vcc, v10, v9, vcc
	v_add_u32_e32 v19, 0x100, v16
	v_lshl_or_b32 v20, v0, 3, v8
	v_lshlrev_b32_e32 v1, 4, v1
	s_addc_u32 s13, s13, s29
	v_lshl_add_u32 v8, s24, 1, v0
	v_mov_b32_e32 v10, 0
	v_mov_b32_e32 v12, 0
	;; [unrolled: 1-line block ×3, first 2 shown]
	s_branch .LBB27_8
.LBB27_7:                               ;   in Loop: Header=BB27_8 Depth=1
	s_or_b64 exec, exec, s[28:29]
	s_waitcnt lgkmcnt(0)
	; wave barrier
	ds_read_b64 v[21:22], v20
	ds_read_b64 v[23:24], v1
	s_add_i32 s24, s24, 1
	s_add_u32 s12, s12, 4
	s_addc_u32 s13, s13, 0
	s_cmp_ge_i32 s24, s21
	s_waitcnt lgkmcnt(0)
	v_fmac_f32_e32 v13, v21, v23
	v_fmac_f32_e32 v12, v22, v23
	v_fma_f32 v13, -v22, v24, v13
	v_fmac_f32_e32 v12, v21, v24
	v_add_u32_e32 v8, 2, v8
	; wave barrier
	s_cbranch_scc1 .LBB27_17
.LBB27_8:                               ; =>This Inner Loop Header: Depth=1
	s_and_saveexec_b64 s[28:29], s[18:19]
	s_xor_b64 s[28:29], exec, s[28:29]
; %bb.9:                                ;   in Loop: Header=BB27_8 Depth=1
	v_mov_b32_e32 v11, v10
	ds_write_b64 v16, v[10:11]
; %bb.10:                               ;   in Loop: Header=BB27_8 Depth=1
	s_andn2_saveexec_b64 s[28:29], s[28:29]
	s_cbranch_execz .LBB27_15
; %bb.11:                               ;   in Loop: Header=BB27_8 Depth=1
	s_load_dword s7, s[12:13], 0x0
	s_mov_b64 s[34:35], -1
	s_and_b64 vcc, exec, s[16:17]
	s_waitcnt lgkmcnt(0)
	s_sub_i32 s30, s7, s20
	s_ashr_i32 s31, s30, 31
	s_cbranch_vccz .LBB27_13
; %bb.12:                               ;   in Loop: Header=BB27_8 Depth=1
	s_mul_i32 s7, s8, s31
	s_mul_hi_u32 s25, s8, s30
	s_add_i32 s7, s25, s7
	s_mul_i32 s25, s9, s30
	s_add_i32 s35, s7, s25
	s_mul_i32 s34, s8, s30
	s_lshl_b64 s[34:35], s[34:35], 3
	v_mov_b32_e32 v9, s35
	v_add_co_u32_e32 v21, vcc, s34, v14
	v_addc_co_u32_e32 v22, vcc, v15, v9, vcc
	global_load_dwordx2 v[21:22], v[21:22], off
	s_mov_b64 s[34:35], 0
	s_waitcnt vmcnt(0)
	ds_write_b64 v16, v[21:22]
.LBB27_13:                              ;   in Loop: Header=BB27_8 Depth=1
	s_andn2_b64 vcc, exec, s[34:35]
	s_cbranch_vccnz .LBB27_15
; %bb.14:                               ;   in Loop: Header=BB27_8 Depth=1
	s_lshl_b64 s[30:31], s[30:31], 3
	v_mov_b32_e32 v9, s31
	v_add_co_u32_e32 v21, vcc, s30, v17
	v_addc_co_u32_e32 v22, vcc, v18, v9, vcc
	global_load_dwordx2 v[21:22], v[21:22], off
	s_waitcnt vmcnt(0)
	ds_write_b64 v16, v[21:22]
.LBB27_15:                              ;   in Loop: Header=BB27_8 Depth=1
	s_or_b64 exec, exec, s[28:29]
	s_and_saveexec_b64 s[28:29], s[26:27]
	s_cbranch_execz .LBB27_7
; %bb.16:                               ;   in Loop: Header=BB27_8 Depth=1
	v_ashrrev_i32_e32 v9, 31, v8
	v_lshlrev_b64 v[21:22], 3, v[8:9]
	v_mov_b32_e32 v9, s15
	v_add_co_u32_e32 v21, vcc, s14, v21
	v_addc_co_u32_e32 v22, vcc, v9, v22, vcc
	global_load_dwordx2 v[21:22], v[21:22], off
	s_waitcnt vmcnt(0)
	ds_write_b64 v19, v[21:22]
	s_branch .LBB27_7
.LBB27_17:
	s_and_b64 s[0:1], s[22:23], s[0:1]
	s_and_b64 s[0:1], s[0:1], s[2:3]
	s_and_b64 exec, exec, s[0:1]
	s_cbranch_execz .LBB27_22
; %bb.18:
	s_load_dwordx2 s[0:1], s[4:5], 0x58
	v_lshl_add_u32 v8, s6, 1, v0
	v_cmp_neq_f32_e32 vcc, 0, v2
	v_ashrrev_i32_e32 v9, 31, v8
	s_waitcnt lgkmcnt(0)
	v_mul_lo_u32 v0, s1, v6
	v_mul_lo_u32 v1, s0, v7
	v_mad_u64_u32 v[6:7], s[0:1], s0, v6, 0
	v_cmp_neq_f32_e64 s[0:1], 0, v3
	s_or_b64 s[0:1], vcc, s[0:1]
	v_add3_u32 v7, v7, v1, v0
	v_mul_f32_e64 v0, v12, -v5
	v_mul_f32_e32 v1, v4, v12
	v_lshlrev_b64 v[6:7], 3, v[6:7]
	v_fmac_f32_e32 v0, v4, v13
	v_fmac_f32_e32 v1, v5, v13
	s_and_saveexec_b64 s[2:3], s[0:1]
	s_xor_b64 s[0:1], exec, s[2:3]
	s_cbranch_execz .LBB27_20
; %bb.19:
	v_mov_b32_e32 v4, s11
	v_add_co_u32_e32 v6, vcc, s10, v6
	v_addc_co_u32_e32 v7, vcc, v4, v7, vcc
	v_lshlrev_b64 v[4:5], 3, v[8:9]
                                        ; implicit-def: $vgpr8
	v_add_co_u32_e32 v4, vcc, v6, v4
	v_addc_co_u32_e32 v5, vcc, v7, v5, vcc
	global_load_dwordx2 v[6:7], v[4:5], off
	s_waitcnt vmcnt(0)
	v_fmac_f32_e32 v0, v2, v6
	v_fmac_f32_e32 v1, v3, v6
	v_fma_f32 v0, -v3, v7, v0
	v_fmac_f32_e32 v1, v2, v7
	global_store_dwordx2 v[4:5], v[0:1], off
                                        ; implicit-def: $vgpr6_vgpr7
                                        ; implicit-def: $vgpr0
.LBB27_20:
	s_andn2_saveexec_b64 s[0:1], s[0:1]
	s_cbranch_execz .LBB27_22
; %bb.21:
	v_mov_b32_e32 v2, s11
	v_add_co_u32_e32 v4, vcc, s10, v6
	v_addc_co_u32_e32 v5, vcc, v2, v7, vcc
	v_lshlrev_b64 v[2:3], 3, v[8:9]
	v_add_co_u32_e32 v2, vcc, v4, v2
	v_addc_co_u32_e32 v3, vcc, v5, v3, vcc
	global_store_dwordx2 v[2:3], v[0:1], off
.LBB27_22:
	s_endpgm
	.section	.rodata,"a",@progbits
	.p2align	6, 0x0
	.amdhsa_kernel _ZN9rocsparseL29gebsrmm_small_blockdim_kernelILi2ELi1ELi2ELi16E21rocsparse_complex_numIfEEEv20rocsparse_direction_20rocsparse_operation_iiNS_24const_host_device_scalarIT3_EEPKiS9_PKS6_iiSB_lS7_PS6_l21rocsparse_index_base_b
		.amdhsa_group_segment_fixed_size 288
		.amdhsa_private_segment_fixed_size 0
		.amdhsa_kernarg_size 104
		.amdhsa_user_sgpr_count 6
		.amdhsa_user_sgpr_private_segment_buffer 1
		.amdhsa_user_sgpr_dispatch_ptr 0
		.amdhsa_user_sgpr_queue_ptr 0
		.amdhsa_user_sgpr_kernarg_segment_ptr 1
		.amdhsa_user_sgpr_dispatch_id 0
		.amdhsa_user_sgpr_flat_scratch_init 0
		.amdhsa_user_sgpr_private_segment_size 0
		.amdhsa_uses_dynamic_stack 0
		.amdhsa_system_sgpr_private_segment_wavefront_offset 0
		.amdhsa_system_sgpr_workgroup_id_x 1
		.amdhsa_system_sgpr_workgroup_id_y 1
		.amdhsa_system_sgpr_workgroup_id_z 0
		.amdhsa_system_sgpr_workgroup_info 0
		.amdhsa_system_vgpr_workitem_id 1
		.amdhsa_next_free_vgpr 25
		.amdhsa_next_free_sgpr 36
		.amdhsa_reserve_vcc 1
		.amdhsa_reserve_flat_scratch 0
		.amdhsa_float_round_mode_32 0
		.amdhsa_float_round_mode_16_64 0
		.amdhsa_float_denorm_mode_32 3
		.amdhsa_float_denorm_mode_16_64 3
		.amdhsa_dx10_clamp 1
		.amdhsa_ieee_mode 1
		.amdhsa_fp16_overflow 0
		.amdhsa_exception_fp_ieee_invalid_op 0
		.amdhsa_exception_fp_denorm_src 0
		.amdhsa_exception_fp_ieee_div_zero 0
		.amdhsa_exception_fp_ieee_overflow 0
		.amdhsa_exception_fp_ieee_underflow 0
		.amdhsa_exception_fp_ieee_inexact 0
		.amdhsa_exception_int_div_zero 0
	.end_amdhsa_kernel
	.section	.text._ZN9rocsparseL29gebsrmm_small_blockdim_kernelILi2ELi1ELi2ELi16E21rocsparse_complex_numIfEEEv20rocsparse_direction_20rocsparse_operation_iiNS_24const_host_device_scalarIT3_EEPKiS9_PKS6_iiSB_lS7_PS6_l21rocsparse_index_base_b,"axG",@progbits,_ZN9rocsparseL29gebsrmm_small_blockdim_kernelILi2ELi1ELi2ELi16E21rocsparse_complex_numIfEEEv20rocsparse_direction_20rocsparse_operation_iiNS_24const_host_device_scalarIT3_EEPKiS9_PKS6_iiSB_lS7_PS6_l21rocsparse_index_base_b,comdat
.Lfunc_end27:
	.size	_ZN9rocsparseL29gebsrmm_small_blockdim_kernelILi2ELi1ELi2ELi16E21rocsparse_complex_numIfEEEv20rocsparse_direction_20rocsparse_operation_iiNS_24const_host_device_scalarIT3_EEPKiS9_PKS6_iiSB_lS7_PS6_l21rocsparse_index_base_b, .Lfunc_end27-_ZN9rocsparseL29gebsrmm_small_blockdim_kernelILi2ELi1ELi2ELi16E21rocsparse_complex_numIfEEEv20rocsparse_direction_20rocsparse_operation_iiNS_24const_host_device_scalarIT3_EEPKiS9_PKS6_iiSB_lS7_PS6_l21rocsparse_index_base_b
                                        ; -- End function
	.set _ZN9rocsparseL29gebsrmm_small_blockdim_kernelILi2ELi1ELi2ELi16E21rocsparse_complex_numIfEEEv20rocsparse_direction_20rocsparse_operation_iiNS_24const_host_device_scalarIT3_EEPKiS9_PKS6_iiSB_lS7_PS6_l21rocsparse_index_base_b.num_vgpr, 25
	.set _ZN9rocsparseL29gebsrmm_small_blockdim_kernelILi2ELi1ELi2ELi16E21rocsparse_complex_numIfEEEv20rocsparse_direction_20rocsparse_operation_iiNS_24const_host_device_scalarIT3_EEPKiS9_PKS6_iiSB_lS7_PS6_l21rocsparse_index_base_b.num_agpr, 0
	.set _ZN9rocsparseL29gebsrmm_small_blockdim_kernelILi2ELi1ELi2ELi16E21rocsparse_complex_numIfEEEv20rocsparse_direction_20rocsparse_operation_iiNS_24const_host_device_scalarIT3_EEPKiS9_PKS6_iiSB_lS7_PS6_l21rocsparse_index_base_b.numbered_sgpr, 36
	.set _ZN9rocsparseL29gebsrmm_small_blockdim_kernelILi2ELi1ELi2ELi16E21rocsparse_complex_numIfEEEv20rocsparse_direction_20rocsparse_operation_iiNS_24const_host_device_scalarIT3_EEPKiS9_PKS6_iiSB_lS7_PS6_l21rocsparse_index_base_b.num_named_barrier, 0
	.set _ZN9rocsparseL29gebsrmm_small_blockdim_kernelILi2ELi1ELi2ELi16E21rocsparse_complex_numIfEEEv20rocsparse_direction_20rocsparse_operation_iiNS_24const_host_device_scalarIT3_EEPKiS9_PKS6_iiSB_lS7_PS6_l21rocsparse_index_base_b.private_seg_size, 0
	.set _ZN9rocsparseL29gebsrmm_small_blockdim_kernelILi2ELi1ELi2ELi16E21rocsparse_complex_numIfEEEv20rocsparse_direction_20rocsparse_operation_iiNS_24const_host_device_scalarIT3_EEPKiS9_PKS6_iiSB_lS7_PS6_l21rocsparse_index_base_b.uses_vcc, 1
	.set _ZN9rocsparseL29gebsrmm_small_blockdim_kernelILi2ELi1ELi2ELi16E21rocsparse_complex_numIfEEEv20rocsparse_direction_20rocsparse_operation_iiNS_24const_host_device_scalarIT3_EEPKiS9_PKS6_iiSB_lS7_PS6_l21rocsparse_index_base_b.uses_flat_scratch, 0
	.set _ZN9rocsparseL29gebsrmm_small_blockdim_kernelILi2ELi1ELi2ELi16E21rocsparse_complex_numIfEEEv20rocsparse_direction_20rocsparse_operation_iiNS_24const_host_device_scalarIT3_EEPKiS9_PKS6_iiSB_lS7_PS6_l21rocsparse_index_base_b.has_dyn_sized_stack, 0
	.set _ZN9rocsparseL29gebsrmm_small_blockdim_kernelILi2ELi1ELi2ELi16E21rocsparse_complex_numIfEEEv20rocsparse_direction_20rocsparse_operation_iiNS_24const_host_device_scalarIT3_EEPKiS9_PKS6_iiSB_lS7_PS6_l21rocsparse_index_base_b.has_recursion, 0
	.set _ZN9rocsparseL29gebsrmm_small_blockdim_kernelILi2ELi1ELi2ELi16E21rocsparse_complex_numIfEEEv20rocsparse_direction_20rocsparse_operation_iiNS_24const_host_device_scalarIT3_EEPKiS9_PKS6_iiSB_lS7_PS6_l21rocsparse_index_base_b.has_indirect_call, 0
	.section	.AMDGPU.csdata,"",@progbits
; Kernel info:
; codeLenInByte = 1048
; TotalNumSgprs: 40
; NumVgprs: 25
; ScratchSize: 0
; MemoryBound: 0
; FloatMode: 240
; IeeeMode: 1
; LDSByteSize: 288 bytes/workgroup (compile time only)
; SGPRBlocks: 4
; VGPRBlocks: 6
; NumSGPRsForWavesPerEU: 40
; NumVGPRsForWavesPerEU: 25
; Occupancy: 9
; WaveLimiterHint : 1
; COMPUTE_PGM_RSRC2:SCRATCH_EN: 0
; COMPUTE_PGM_RSRC2:USER_SGPR: 6
; COMPUTE_PGM_RSRC2:TRAP_HANDLER: 0
; COMPUTE_PGM_RSRC2:TGID_X_EN: 1
; COMPUTE_PGM_RSRC2:TGID_Y_EN: 1
; COMPUTE_PGM_RSRC2:TGID_Z_EN: 0
; COMPUTE_PGM_RSRC2:TIDIG_COMP_CNT: 1
	.section	.text._ZN9rocsparseL29gebsrmm_small_blockdim_kernelILi2ELi3ELi3ELi16E21rocsparse_complex_numIfEEEv20rocsparse_direction_20rocsparse_operation_iiNS_24const_host_device_scalarIT3_EEPKiS9_PKS6_iiSB_lS7_PS6_l21rocsparse_index_base_b,"axG",@progbits,_ZN9rocsparseL29gebsrmm_small_blockdim_kernelILi2ELi3ELi3ELi16E21rocsparse_complex_numIfEEEv20rocsparse_direction_20rocsparse_operation_iiNS_24const_host_device_scalarIT3_EEPKiS9_PKS6_iiSB_lS7_PS6_l21rocsparse_index_base_b,comdat
	.globl	_ZN9rocsparseL29gebsrmm_small_blockdim_kernelILi2ELi3ELi3ELi16E21rocsparse_complex_numIfEEEv20rocsparse_direction_20rocsparse_operation_iiNS_24const_host_device_scalarIT3_EEPKiS9_PKS6_iiSB_lS7_PS6_l21rocsparse_index_base_b ; -- Begin function _ZN9rocsparseL29gebsrmm_small_blockdim_kernelILi2ELi3ELi3ELi16E21rocsparse_complex_numIfEEEv20rocsparse_direction_20rocsparse_operation_iiNS_24const_host_device_scalarIT3_EEPKiS9_PKS6_iiSB_lS7_PS6_l21rocsparse_index_base_b
	.p2align	8
	.type	_ZN9rocsparseL29gebsrmm_small_blockdim_kernelILi2ELi3ELi3ELi16E21rocsparse_complex_numIfEEEv20rocsparse_direction_20rocsparse_operation_iiNS_24const_host_device_scalarIT3_EEPKiS9_PKS6_iiSB_lS7_PS6_l21rocsparse_index_base_b,@function
_ZN9rocsparseL29gebsrmm_small_blockdim_kernelILi2ELi3ELi3ELi16E21rocsparse_complex_numIfEEEv20rocsparse_direction_20rocsparse_operation_iiNS_24const_host_device_scalarIT3_EEPKiS9_PKS6_iiSB_lS7_PS6_l21rocsparse_index_base_b: ; @_ZN9rocsparseL29gebsrmm_small_blockdim_kernelILi2ELi3ELi3ELi16E21rocsparse_complex_numIfEEEv20rocsparse_direction_20rocsparse_operation_iiNS_24const_host_device_scalarIT3_EEPKiS9_PKS6_iiSB_lS7_PS6_l21rocsparse_index_base_b
; %bb.0:
	s_load_dwordx2 s[0:1], s[4:5], 0x10
	s_load_dwordx4 s[8:11], s[4:5], 0x40
	s_load_dwordx2 s[20:21], s[4:5], 0x60
	s_add_u32 s2, s4, 16
	s_addc_u32 s3, s5, 0
	s_add_u32 s12, s4, 0x48
	s_addc_u32 s13, s5, 0
	s_waitcnt lgkmcnt(0)
	s_bitcmp1_b32 s21, 0
	s_cselect_b32 s1, s3, s1
	s_cselect_b32 s0, s2, s0
	v_mov_b32_e32 v2, s0
	v_mov_b32_e32 v3, s1
	flat_load_dwordx2 v[4:5], v[2:3]
	s_cselect_b32 s0, s13, s11
	s_cselect_b32 s1, s12, s10
	v_mov_b32_e32 v2, s1
	v_mov_b32_e32 v3, s0
	flat_load_dwordx2 v[2:3], v[2:3]
	s_waitcnt vmcnt(0) lgkmcnt(0)
	v_cmp_eq_f32_e32 vcc, 0, v4
	v_cmp_eq_f32_e64 s[0:1], 0, v5
	s_and_b64 s[10:11], vcc, s[0:1]
	s_mov_b64 s[0:1], -1
	s_and_saveexec_b64 s[2:3], s[10:11]
; %bb.1:
	v_cmp_neq_f32_e32 vcc, 1.0, v2
	v_cmp_neq_f32_e64 s[0:1], 0, v3
	s_or_b64 s[0:1], vcc, s[0:1]
	s_orn2_b64 s[0:1], s[0:1], exec
; %bb.2:
	s_or_b64 exec, exec, s[2:3]
	s_and_saveexec_b64 s[2:3], s[0:1]
	s_cbranch_execz .LBB28_22
; %bb.3:
	s_load_dwordx4 s[16:19], s[4:5], 0x0
	s_mov_b32 s21, 0
	s_waitcnt lgkmcnt(0)
	s_cmp_lt_i32 s6, s18
	s_cselect_b64 s[22:23], -1, 0
	s_cmp_ge_i32 s6, s18
	s_mov_b32 s18, 0
	s_cbranch_scc1 .LBB28_5
; %bb.4:
	s_load_dwordx2 s[2:3], s[4:5], 0x18
	s_mov_b32 s0, s7
	s_ashr_i32 s7, s6, 31
	s_lshl_b64 s[10:11], s[6:7], 2
	s_mov_b32 s7, s0
	s_waitcnt lgkmcnt(0)
	s_add_u32 s0, s2, s10
	s_addc_u32 s1, s3, s11
	s_load_dwordx2 s[2:3], s[0:1], 0x0
	s_waitcnt lgkmcnt(0)
	s_sub_i32 s18, s2, s20
	s_sub_i32 s21, s3, s20
.LBB28_5:
	s_load_dwordx2 s[10:11], s[4:5], 0x50
	v_lshl_add_u32 v6, s7, 4, v1
	v_ashrrev_i32_e32 v7, 31, v6
	v_cmp_gt_i32_e64 s[0:1], s19, v6
	v_cmp_gt_u32_e64 s[2:3], 2, v0
	v_mov_b32_e32 v14, 0
	s_cmp_ge_i32 s18, s21
	v_mov_b32_e32 v19, 0
	s_cbranch_scc1 .LBB28_17
; %bb.6:
	s_load_dwordx4 s[12:15], s[4:5], 0x20
	s_load_dwordx2 s[30:31], s[4:5], 0x38
	v_mul_lo_u32 v14, s9, v6
	v_mul_lo_u32 v15, s8, v7
	v_mad_u64_u32 v[10:11], s[28:29], s8, v6, 0
	v_cmp_lt_u32_e32 vcc, 2, v0
	s_xor_b64 s[24:25], s[0:1], -1
	v_lshlrev_b64 v[8:9], 3, v[6:7]
	s_or_b64 s[24:25], s[24:25], vcc
	v_cmp_gt_u32_e32 vcc, 3, v1
	s_and_b64 s[26:27], s[2:3], vcc
	s_waitcnt lgkmcnt(0)
	v_mov_b32_e32 v13, s31
	v_add_co_u32_e32 v12, vcc, s30, v8
	v_add3_u32 v11, v11, v15, v14
	v_addc_co_u32_e32 v13, vcc, v13, v9, vcc
	v_lshlrev_b64 v[8:9], 3, v[10:11]
	v_mov_b32_e32 v10, s31
	v_add_co_u32_e32 v11, vcc, s30, v8
	v_addc_co_u32_e32 v9, vcc, v10, v9, vcc
	v_lshlrev_b32_e32 v10, 3, v0
	s_cmpk_lg_i32 s17, 0x6f
	v_add_co_u32_e32 v16, vcc, v11, v10
	v_mad_u32_u24 v18, v1, 3, v0
	s_cselect_b64 s[28:29], -1, 0
	v_addc_co_u32_e32 v17, vcc, 0, v9, vcc
	s_cmp_eq_u32 s16, 0
	v_sub_u32_e32 v9, v18, v1
	v_mad_u32_u24 v11, v0, 3, v1
	s_cselect_b64 vcc, -1, 0
	v_cndmask_b32_e32 v9, v9, v11, vcc
	v_mul_u32_u24_e32 v14, 3, v1
	v_add_u32_e32 v1, 0x180, v10
	s_ashr_i32 s19, s18, 31
	v_mad_u64_u32 v[10:11], s[30:31], s18, 6, v[9:10]
	s_lshl_b64 s[16:17], s[18:19], 2
	v_lshlrev_b32_e32 v15, 3, v18
	s_add_u32 s12, s12, s16
	v_mov_b32_e32 v8, 0
	v_add_u32_e32 v18, 0x180, v15
	v_lshlrev_b32_e32 v20, 3, v14
	s_addc_u32 s13, s13, s17
	v_mov_b32_e32 v14, 0
	v_mov_b32_e32 v19, 0
	s_branch .LBB28_8
.LBB28_7:                               ;   in Loop: Header=BB28_8 Depth=1
	s_or_b64 exec, exec, s[16:17]
	s_waitcnt lgkmcnt(0)
	; wave barrier
	ds_read2_b64 v[21:24], v1 offset1:3
	ds_read2_b64 v[25:28], v20 offset1:1
	ds_read_b64 v[29:30], v1 offset:48
	s_add_i32 s18, s18, 1
	s_add_u32 s12, s12, 4
	s_addc_u32 s13, s13, 0
	s_waitcnt lgkmcnt(1)
	v_fmac_f32_e32 v19, v21, v25
	v_fmac_f32_e32 v14, v22, v25
	v_fma_f32 v9, -v22, v26, v19
	v_fmac_f32_e32 v14, v21, v26
	ds_read_b64 v[21:22], v20 offset:16
	v_fmac_f32_e32 v9, v23, v27
	v_fmac_f32_e32 v14, v24, v27
	v_fma_f32 v9, -v24, v28, v9
	v_fmac_f32_e32 v14, v23, v28
	s_waitcnt lgkmcnt(0)
	v_fmac_f32_e32 v9, v29, v21
	v_fmac_f32_e32 v14, v30, v21
	v_fma_f32 v19, -v30, v22, v9
	v_fmac_f32_e32 v14, v29, v22
	s_cmp_ge_i32 s18, s21
	v_add_u32_e32 v10, 6, v10
	; wave barrier
	s_cbranch_scc1 .LBB28_17
.LBB28_8:                               ; =>This Inner Loop Header: Depth=1
	s_and_saveexec_b64 s[16:17], s[24:25]
	s_xor_b64 s[16:17], exec, s[16:17]
; %bb.9:                                ;   in Loop: Header=BB28_8 Depth=1
	v_mov_b32_e32 v9, v8
	ds_write_b64 v15, v[8:9]
; %bb.10:                               ;   in Loop: Header=BB28_8 Depth=1
	s_andn2_saveexec_b64 s[16:17], s[16:17]
	s_cbranch_execz .LBB28_15
; %bb.11:                               ;   in Loop: Header=BB28_8 Depth=1
	s_load_dword s7, s[12:13], 0x0
	s_mov_b64 s[34:35], -1
	s_and_b64 vcc, exec, s[28:29]
	s_waitcnt lgkmcnt(0)
	s_sub_i32 s7, s7, s20
	s_mul_i32 s30, s7, 3
	s_cbranch_vccz .LBB28_13
; %bb.12:                               ;   in Loop: Header=BB28_8 Depth=1
	v_add_u32_e32 v9, s30, v0
	v_ashrrev_i32_e32 v11, 31, v9
	v_mul_lo_u32 v23, s9, v9
	v_mad_u64_u32 v[21:22], s[34:35], s8, v9, 0
	v_mul_lo_u32 v9, s8, v11
	s_mov_b64 s[34:35], 0
	v_add3_u32 v22, v22, v9, v23
	v_lshlrev_b64 v[21:22], 3, v[21:22]
	v_add_co_u32_e32 v21, vcc, v12, v21
	v_addc_co_u32_e32 v22, vcc, v13, v22, vcc
	global_load_dwordx2 v[21:22], v[21:22], off
	s_waitcnt vmcnt(0)
	ds_write_b64 v15, v[21:22]
.LBB28_13:                              ;   in Loop: Header=BB28_8 Depth=1
	s_andn2_b64 vcc, exec, s[34:35]
	s_cbranch_vccnz .LBB28_15
; %bb.14:                               ;   in Loop: Header=BB28_8 Depth=1
	s_ashr_i32 s31, s30, 31
	s_lshl_b64 s[30:31], s[30:31], 3
	v_mov_b32_e32 v9, s31
	v_add_co_u32_e32 v21, vcc, s30, v16
	v_addc_co_u32_e32 v22, vcc, v17, v9, vcc
	global_load_dwordx2 v[21:22], v[21:22], off
	s_waitcnt vmcnt(0)
	ds_write_b64 v15, v[21:22]
.LBB28_15:                              ;   in Loop: Header=BB28_8 Depth=1
	s_or_b64 exec, exec, s[16:17]
	s_and_saveexec_b64 s[16:17], s[26:27]
	s_cbranch_execz .LBB28_7
; %bb.16:                               ;   in Loop: Header=BB28_8 Depth=1
	v_ashrrev_i32_e32 v11, 31, v10
	v_lshlrev_b64 v[21:22], 3, v[10:11]
	v_mov_b32_e32 v9, s15
	v_add_co_u32_e32 v21, vcc, s14, v21
	v_addc_co_u32_e32 v22, vcc, v9, v22, vcc
	global_load_dwordx2 v[21:22], v[21:22], off
	s_waitcnt vmcnt(0)
	ds_write_b64 v18, v[21:22]
	s_branch .LBB28_7
.LBB28_17:
	s_and_b64 s[0:1], s[22:23], s[0:1]
	s_and_b64 s[0:1], s[0:1], s[2:3]
	s_and_b64 exec, exec, s[0:1]
	s_cbranch_execz .LBB28_22
; %bb.18:
	s_load_dwordx2 s[0:1], s[4:5], 0x58
	v_lshl_add_u32 v8, s6, 1, v0
	v_cmp_neq_f32_e32 vcc, 0, v2
	v_ashrrev_i32_e32 v9, 31, v8
	s_waitcnt lgkmcnt(0)
	v_mul_lo_u32 v0, s1, v6
	v_mul_lo_u32 v1, s0, v7
	v_mad_u64_u32 v[6:7], s[0:1], s0, v6, 0
	v_cmp_neq_f32_e64 s[0:1], 0, v3
	s_or_b64 s[0:1], vcc, s[0:1]
	v_add3_u32 v7, v7, v1, v0
	v_mul_f32_e64 v0, v14, -v5
	v_mul_f32_e32 v1, v4, v14
	v_lshlrev_b64 v[6:7], 3, v[6:7]
	v_fmac_f32_e32 v0, v4, v19
	v_fmac_f32_e32 v1, v5, v19
	s_and_saveexec_b64 s[2:3], s[0:1]
	s_xor_b64 s[0:1], exec, s[2:3]
	s_cbranch_execz .LBB28_20
; %bb.19:
	v_mov_b32_e32 v4, s11
	v_add_co_u32_e32 v6, vcc, s10, v6
	v_addc_co_u32_e32 v7, vcc, v4, v7, vcc
	v_lshlrev_b64 v[4:5], 3, v[8:9]
                                        ; implicit-def: $vgpr8
	v_add_co_u32_e32 v4, vcc, v6, v4
	v_addc_co_u32_e32 v5, vcc, v7, v5, vcc
	global_load_dwordx2 v[6:7], v[4:5], off
	s_waitcnt vmcnt(0)
	v_fmac_f32_e32 v0, v2, v6
	v_fmac_f32_e32 v1, v3, v6
	v_fma_f32 v0, -v3, v7, v0
	v_fmac_f32_e32 v1, v2, v7
	global_store_dwordx2 v[4:5], v[0:1], off
                                        ; implicit-def: $vgpr6_vgpr7
                                        ; implicit-def: $vgpr0
.LBB28_20:
	s_andn2_saveexec_b64 s[0:1], s[0:1]
	s_cbranch_execz .LBB28_22
; %bb.21:
	v_mov_b32_e32 v2, s11
	v_add_co_u32_e32 v4, vcc, s10, v6
	v_addc_co_u32_e32 v5, vcc, v2, v7, vcc
	v_lshlrev_b64 v[2:3], 3, v[8:9]
	v_add_co_u32_e32 v2, vcc, v4, v2
	v_addc_co_u32_e32 v3, vcc, v5, v3, vcc
	global_store_dwordx2 v[2:3], v[0:1], off
.LBB28_22:
	s_endpgm
	.section	.rodata,"a",@progbits
	.p2align	6, 0x0
	.amdhsa_kernel _ZN9rocsparseL29gebsrmm_small_blockdim_kernelILi2ELi3ELi3ELi16E21rocsparse_complex_numIfEEEv20rocsparse_direction_20rocsparse_operation_iiNS_24const_host_device_scalarIT3_EEPKiS9_PKS6_iiSB_lS7_PS6_l21rocsparse_index_base_b
		.amdhsa_group_segment_fixed_size 456
		.amdhsa_private_segment_fixed_size 0
		.amdhsa_kernarg_size 104
		.amdhsa_user_sgpr_count 6
		.amdhsa_user_sgpr_private_segment_buffer 1
		.amdhsa_user_sgpr_dispatch_ptr 0
		.amdhsa_user_sgpr_queue_ptr 0
		.amdhsa_user_sgpr_kernarg_segment_ptr 1
		.amdhsa_user_sgpr_dispatch_id 0
		.amdhsa_user_sgpr_flat_scratch_init 0
		.amdhsa_user_sgpr_private_segment_size 0
		.amdhsa_uses_dynamic_stack 0
		.amdhsa_system_sgpr_private_segment_wavefront_offset 0
		.amdhsa_system_sgpr_workgroup_id_x 1
		.amdhsa_system_sgpr_workgroup_id_y 1
		.amdhsa_system_sgpr_workgroup_id_z 0
		.amdhsa_system_sgpr_workgroup_info 0
		.amdhsa_system_vgpr_workitem_id 1
		.amdhsa_next_free_vgpr 31
		.amdhsa_next_free_sgpr 36
		.amdhsa_reserve_vcc 1
		.amdhsa_reserve_flat_scratch 0
		.amdhsa_float_round_mode_32 0
		.amdhsa_float_round_mode_16_64 0
		.amdhsa_float_denorm_mode_32 3
		.amdhsa_float_denorm_mode_16_64 3
		.amdhsa_dx10_clamp 1
		.amdhsa_ieee_mode 1
		.amdhsa_fp16_overflow 0
		.amdhsa_exception_fp_ieee_invalid_op 0
		.amdhsa_exception_fp_denorm_src 0
		.amdhsa_exception_fp_ieee_div_zero 0
		.amdhsa_exception_fp_ieee_overflow 0
		.amdhsa_exception_fp_ieee_underflow 0
		.amdhsa_exception_fp_ieee_inexact 0
		.amdhsa_exception_int_div_zero 0
	.end_amdhsa_kernel
	.section	.text._ZN9rocsparseL29gebsrmm_small_blockdim_kernelILi2ELi3ELi3ELi16E21rocsparse_complex_numIfEEEv20rocsparse_direction_20rocsparse_operation_iiNS_24const_host_device_scalarIT3_EEPKiS9_PKS6_iiSB_lS7_PS6_l21rocsparse_index_base_b,"axG",@progbits,_ZN9rocsparseL29gebsrmm_small_blockdim_kernelILi2ELi3ELi3ELi16E21rocsparse_complex_numIfEEEv20rocsparse_direction_20rocsparse_operation_iiNS_24const_host_device_scalarIT3_EEPKiS9_PKS6_iiSB_lS7_PS6_l21rocsparse_index_base_b,comdat
.Lfunc_end28:
	.size	_ZN9rocsparseL29gebsrmm_small_blockdim_kernelILi2ELi3ELi3ELi16E21rocsparse_complex_numIfEEEv20rocsparse_direction_20rocsparse_operation_iiNS_24const_host_device_scalarIT3_EEPKiS9_PKS6_iiSB_lS7_PS6_l21rocsparse_index_base_b, .Lfunc_end28-_ZN9rocsparseL29gebsrmm_small_blockdim_kernelILi2ELi3ELi3ELi16E21rocsparse_complex_numIfEEEv20rocsparse_direction_20rocsparse_operation_iiNS_24const_host_device_scalarIT3_EEPKiS9_PKS6_iiSB_lS7_PS6_l21rocsparse_index_base_b
                                        ; -- End function
	.set _ZN9rocsparseL29gebsrmm_small_blockdim_kernelILi2ELi3ELi3ELi16E21rocsparse_complex_numIfEEEv20rocsparse_direction_20rocsparse_operation_iiNS_24const_host_device_scalarIT3_EEPKiS9_PKS6_iiSB_lS7_PS6_l21rocsparse_index_base_b.num_vgpr, 31
	.set _ZN9rocsparseL29gebsrmm_small_blockdim_kernelILi2ELi3ELi3ELi16E21rocsparse_complex_numIfEEEv20rocsparse_direction_20rocsparse_operation_iiNS_24const_host_device_scalarIT3_EEPKiS9_PKS6_iiSB_lS7_PS6_l21rocsparse_index_base_b.num_agpr, 0
	.set _ZN9rocsparseL29gebsrmm_small_blockdim_kernelILi2ELi3ELi3ELi16E21rocsparse_complex_numIfEEEv20rocsparse_direction_20rocsparse_operation_iiNS_24const_host_device_scalarIT3_EEPKiS9_PKS6_iiSB_lS7_PS6_l21rocsparse_index_base_b.numbered_sgpr, 36
	.set _ZN9rocsparseL29gebsrmm_small_blockdim_kernelILi2ELi3ELi3ELi16E21rocsparse_complex_numIfEEEv20rocsparse_direction_20rocsparse_operation_iiNS_24const_host_device_scalarIT3_EEPKiS9_PKS6_iiSB_lS7_PS6_l21rocsparse_index_base_b.num_named_barrier, 0
	.set _ZN9rocsparseL29gebsrmm_small_blockdim_kernelILi2ELi3ELi3ELi16E21rocsparse_complex_numIfEEEv20rocsparse_direction_20rocsparse_operation_iiNS_24const_host_device_scalarIT3_EEPKiS9_PKS6_iiSB_lS7_PS6_l21rocsparse_index_base_b.private_seg_size, 0
	.set _ZN9rocsparseL29gebsrmm_small_blockdim_kernelILi2ELi3ELi3ELi16E21rocsparse_complex_numIfEEEv20rocsparse_direction_20rocsparse_operation_iiNS_24const_host_device_scalarIT3_EEPKiS9_PKS6_iiSB_lS7_PS6_l21rocsparse_index_base_b.uses_vcc, 1
	.set _ZN9rocsparseL29gebsrmm_small_blockdim_kernelILi2ELi3ELi3ELi16E21rocsparse_complex_numIfEEEv20rocsparse_direction_20rocsparse_operation_iiNS_24const_host_device_scalarIT3_EEPKiS9_PKS6_iiSB_lS7_PS6_l21rocsparse_index_base_b.uses_flat_scratch, 0
	.set _ZN9rocsparseL29gebsrmm_small_blockdim_kernelILi2ELi3ELi3ELi16E21rocsparse_complex_numIfEEEv20rocsparse_direction_20rocsparse_operation_iiNS_24const_host_device_scalarIT3_EEPKiS9_PKS6_iiSB_lS7_PS6_l21rocsparse_index_base_b.has_dyn_sized_stack, 0
	.set _ZN9rocsparseL29gebsrmm_small_blockdim_kernelILi2ELi3ELi3ELi16E21rocsparse_complex_numIfEEEv20rocsparse_direction_20rocsparse_operation_iiNS_24const_host_device_scalarIT3_EEPKiS9_PKS6_iiSB_lS7_PS6_l21rocsparse_index_base_b.has_recursion, 0
	.set _ZN9rocsparseL29gebsrmm_small_blockdim_kernelILi2ELi3ELi3ELi16E21rocsparse_complex_numIfEEEv20rocsparse_direction_20rocsparse_operation_iiNS_24const_host_device_scalarIT3_EEPKiS9_PKS6_iiSB_lS7_PS6_l21rocsparse_index_base_b.has_indirect_call, 0
	.section	.AMDGPU.csdata,"",@progbits
; Kernel info:
; codeLenInByte = 1160
; TotalNumSgprs: 40
; NumVgprs: 31
; ScratchSize: 0
; MemoryBound: 0
; FloatMode: 240
; IeeeMode: 1
; LDSByteSize: 456 bytes/workgroup (compile time only)
; SGPRBlocks: 4
; VGPRBlocks: 7
; NumSGPRsForWavesPerEU: 40
; NumVGPRsForWavesPerEU: 31
; Occupancy: 8
; WaveLimiterHint : 1
; COMPUTE_PGM_RSRC2:SCRATCH_EN: 0
; COMPUTE_PGM_RSRC2:USER_SGPR: 6
; COMPUTE_PGM_RSRC2:TRAP_HANDLER: 0
; COMPUTE_PGM_RSRC2:TGID_X_EN: 1
; COMPUTE_PGM_RSRC2:TGID_Y_EN: 1
; COMPUTE_PGM_RSRC2:TGID_Z_EN: 0
; COMPUTE_PGM_RSRC2:TIDIG_COMP_CNT: 1
	.section	.text._ZN9rocsparseL29gebsrmm_small_blockdim_kernelILi2ELi4ELi4ELi16E21rocsparse_complex_numIfEEEv20rocsparse_direction_20rocsparse_operation_iiNS_24const_host_device_scalarIT3_EEPKiS9_PKS6_iiSB_lS7_PS6_l21rocsparse_index_base_b,"axG",@progbits,_ZN9rocsparseL29gebsrmm_small_blockdim_kernelILi2ELi4ELi4ELi16E21rocsparse_complex_numIfEEEv20rocsparse_direction_20rocsparse_operation_iiNS_24const_host_device_scalarIT3_EEPKiS9_PKS6_iiSB_lS7_PS6_l21rocsparse_index_base_b,comdat
	.globl	_ZN9rocsparseL29gebsrmm_small_blockdim_kernelILi2ELi4ELi4ELi16E21rocsparse_complex_numIfEEEv20rocsparse_direction_20rocsparse_operation_iiNS_24const_host_device_scalarIT3_EEPKiS9_PKS6_iiSB_lS7_PS6_l21rocsparse_index_base_b ; -- Begin function _ZN9rocsparseL29gebsrmm_small_blockdim_kernelILi2ELi4ELi4ELi16E21rocsparse_complex_numIfEEEv20rocsparse_direction_20rocsparse_operation_iiNS_24const_host_device_scalarIT3_EEPKiS9_PKS6_iiSB_lS7_PS6_l21rocsparse_index_base_b
	.p2align	8
	.type	_ZN9rocsparseL29gebsrmm_small_blockdim_kernelILi2ELi4ELi4ELi16E21rocsparse_complex_numIfEEEv20rocsparse_direction_20rocsparse_operation_iiNS_24const_host_device_scalarIT3_EEPKiS9_PKS6_iiSB_lS7_PS6_l21rocsparse_index_base_b,@function
_ZN9rocsparseL29gebsrmm_small_blockdim_kernelILi2ELi4ELi4ELi16E21rocsparse_complex_numIfEEEv20rocsparse_direction_20rocsparse_operation_iiNS_24const_host_device_scalarIT3_EEPKiS9_PKS6_iiSB_lS7_PS6_l21rocsparse_index_base_b: ; @_ZN9rocsparseL29gebsrmm_small_blockdim_kernelILi2ELi4ELi4ELi16E21rocsparse_complex_numIfEEEv20rocsparse_direction_20rocsparse_operation_iiNS_24const_host_device_scalarIT3_EEPKiS9_PKS6_iiSB_lS7_PS6_l21rocsparse_index_base_b
; %bb.0:
	s_load_dwordx2 s[0:1], s[4:5], 0x10
	s_load_dwordx4 s[8:11], s[4:5], 0x40
	s_load_dwordx2 s[20:21], s[4:5], 0x60
	s_add_u32 s2, s4, 16
	s_addc_u32 s3, s5, 0
	s_add_u32 s12, s4, 0x48
	s_addc_u32 s13, s5, 0
	s_waitcnt lgkmcnt(0)
	s_bitcmp1_b32 s21, 0
	s_cselect_b32 s1, s3, s1
	s_cselect_b32 s0, s2, s0
	v_mov_b32_e32 v2, s0
	v_mov_b32_e32 v3, s1
	flat_load_dwordx2 v[4:5], v[2:3]
	s_cselect_b32 s0, s13, s11
	s_cselect_b32 s1, s12, s10
	v_mov_b32_e32 v2, s1
	v_mov_b32_e32 v3, s0
	flat_load_dwordx2 v[2:3], v[2:3]
	s_waitcnt vmcnt(0) lgkmcnt(0)
	v_cmp_eq_f32_e32 vcc, 0, v4
	v_cmp_eq_f32_e64 s[0:1], 0, v5
	s_and_b64 s[10:11], vcc, s[0:1]
	s_mov_b64 s[0:1], -1
	s_and_saveexec_b64 s[2:3], s[10:11]
; %bb.1:
	v_cmp_neq_f32_e32 vcc, 1.0, v2
	v_cmp_neq_f32_e64 s[0:1], 0, v3
	s_or_b64 s[0:1], vcc, s[0:1]
	s_orn2_b64 s[0:1], s[0:1], exec
; %bb.2:
	s_or_b64 exec, exec, s[2:3]
	s_and_saveexec_b64 s[2:3], s[0:1]
	s_cbranch_execz .LBB29_22
; %bb.3:
	s_load_dwordx4 s[16:19], s[4:5], 0x0
	s_mov_b32 s21, 0
	s_waitcnt lgkmcnt(0)
	s_cmp_lt_i32 s6, s18
	s_cselect_b64 s[22:23], -1, 0
	s_cmp_ge_i32 s6, s18
	s_mov_b32 s18, 0
	s_cbranch_scc1 .LBB29_5
; %bb.4:
	s_load_dwordx2 s[2:3], s[4:5], 0x18
	s_mov_b32 s0, s7
	s_ashr_i32 s7, s6, 31
	s_lshl_b64 s[10:11], s[6:7], 2
	s_mov_b32 s7, s0
	s_waitcnt lgkmcnt(0)
	s_add_u32 s0, s2, s10
	s_addc_u32 s1, s3, s11
	s_load_dwordx2 s[2:3], s[0:1], 0x0
	s_waitcnt lgkmcnt(0)
	s_sub_i32 s18, s2, s20
	s_sub_i32 s21, s3, s20
.LBB29_5:
	s_load_dwordx2 s[10:11], s[4:5], 0x50
	v_lshl_add_u32 v6, s7, 4, v1
	v_ashrrev_i32_e32 v7, 31, v6
	v_cmp_gt_i32_e64 s[0:1], s19, v6
	v_cmp_gt_u32_e64 s[2:3], 2, v0
	v_mov_b32_e32 v14, 0
	s_cmp_ge_i32 s18, s21
	v_mov_b32_e32 v18, 0
	s_cbranch_scc1 .LBB29_17
; %bb.6:
	s_load_dwordx4 s[12:15], s[4:5], 0x20
	s_load_dwordx2 s[30:31], s[4:5], 0x38
	v_mul_lo_u32 v14, s9, v6
	v_mul_lo_u32 v15, s8, v7
	v_mad_u64_u32 v[10:11], s[28:29], s8, v6, 0
	v_cmp_lt_u32_e32 vcc, 3, v0
	s_xor_b64 s[24:25], s[0:1], -1
	v_lshlrev_b64 v[8:9], 3, v[6:7]
	s_or_b64 s[24:25], s[24:25], vcc
	v_cmp_gt_u32_e32 vcc, 4, v1
	s_and_b64 s[26:27], s[2:3], vcc
	s_waitcnt lgkmcnt(0)
	v_mov_b32_e32 v13, s31
	v_add_co_u32_e32 v12, vcc, s30, v8
	v_add3_u32 v11, v11, v15, v14
	v_addc_co_u32_e32 v13, vcc, v13, v9, vcc
	v_lshlrev_b64 v[8:9], 3, v[10:11]
	v_mov_b32_e32 v10, s31
	v_add_co_u32_e32 v11, vcc, s30, v8
	v_addc_co_u32_e32 v9, vcc, v10, v9, vcc
	v_lshlrev_b32_e32 v10, 3, v0
	s_cmpk_lg_i32 s17, 0x6f
	v_add_co_u32_e32 v16, vcc, v11, v10
	s_cselect_b64 s[28:29], -1, 0
	v_addc_co_u32_e32 v17, vcc, 0, v9, vcc
	s_cmp_eq_u32 s16, 0
	v_lshl_add_u32 v14, v1, 2, v0
	v_lshlrev_b32_e32 v9, 1, v1
	s_cselect_b64 vcc, -1, 0
	s_ashr_i32 s19, s18, 31
	v_sub_u32_e32 v9, v14, v9
	v_lshl_add_u32 v11, v0, 2, v1
	s_lshl_b64 s[16:17], s[18:19], 2
	v_lshlrev_b32_e32 v15, 3, v14
	v_cndmask_b32_e32 v9, v9, v11, vcc
	s_add_u32 s12, s12, s16
	v_mov_b32_e32 v8, 0
	v_add_u32_e32 v19, 0x200, v15
	v_add_u32_e32 v20, 0x200, v10
	v_lshlrev_b32_e32 v1, 5, v1
	s_addc_u32 s13, s13, s17
	v_lshl_add_u32 v10, s18, 3, v9
	v_mov_b32_e32 v14, 0
	v_mov_b32_e32 v18, 0
	s_branch .LBB29_8
.LBB29_7:                               ;   in Loop: Header=BB29_8 Depth=1
	s_or_b64 exec, exec, s[16:17]
	s_waitcnt lgkmcnt(0)
	; wave barrier
	ds_read2_b64 v[21:24], v20 offset1:4
	ds_read_b128 v[25:28], v1
	ds_read_b128 v[29:32], v1 offset:16
	ds_read2_b64 v[33:36], v20 offset0:8 offset1:12
	s_add_i32 s18, s18, 1
	s_add_u32 s12, s12, 4
	s_waitcnt lgkmcnt(2)
	v_fmac_f32_e32 v18, v21, v25
	v_fmac_f32_e32 v14, v22, v25
	v_fma_f32 v9, -v22, v26, v18
	v_fmac_f32_e32 v14, v21, v26
	v_fmac_f32_e32 v9, v23, v27
	;; [unrolled: 1-line block ×3, first 2 shown]
	v_fma_f32 v9, -v24, v28, v9
	v_fmac_f32_e32 v14, v23, v28
	s_waitcnt lgkmcnt(0)
	v_fmac_f32_e32 v9, v33, v29
	v_fmac_f32_e32 v14, v34, v29
	v_fma_f32 v9, -v34, v30, v9
	v_fmac_f32_e32 v14, v33, v30
	v_fmac_f32_e32 v9, v35, v31
	;; [unrolled: 1-line block ×3, first 2 shown]
	s_addc_u32 s13, s13, 0
	v_fma_f32 v18, -v36, v32, v9
	v_fmac_f32_e32 v14, v35, v32
	s_cmp_ge_i32 s18, s21
	v_add_u32_e32 v10, 8, v10
	; wave barrier
	s_cbranch_scc1 .LBB29_17
.LBB29_8:                               ; =>This Inner Loop Header: Depth=1
	s_and_saveexec_b64 s[16:17], s[24:25]
	s_xor_b64 s[16:17], exec, s[16:17]
; %bb.9:                                ;   in Loop: Header=BB29_8 Depth=1
	v_mov_b32_e32 v9, v8
	ds_write_b64 v15, v[8:9]
; %bb.10:                               ;   in Loop: Header=BB29_8 Depth=1
	s_andn2_saveexec_b64 s[16:17], s[16:17]
	s_cbranch_execz .LBB29_15
; %bb.11:                               ;   in Loop: Header=BB29_8 Depth=1
	s_load_dword s7, s[12:13], 0x0
	s_mov_b64 s[34:35], -1
	s_and_b64 vcc, exec, s[28:29]
	s_waitcnt lgkmcnt(0)
	s_sub_i32 s7, s7, s20
	s_lshl_b32 s30, s7, 2
	s_cbranch_vccz .LBB29_13
; %bb.12:                               ;   in Loop: Header=BB29_8 Depth=1
	v_or_b32_e32 v9, s30, v0
	v_mul_lo_u32 v11, s9, v9
	v_mad_u64_u32 v[21:22], s[34:35], s8, v9, 0
	s_ashr_i32 s7, s30, 31
	s_mul_i32 s7, s8, s7
	v_add3_u32 v22, v22, s7, v11
	v_lshlrev_b64 v[21:22], 3, v[21:22]
	s_mov_b64 s[34:35], 0
	v_add_co_u32_e32 v21, vcc, v12, v21
	v_addc_co_u32_e32 v22, vcc, v13, v22, vcc
	global_load_dwordx2 v[21:22], v[21:22], off
	s_waitcnt vmcnt(0)
	ds_write_b64 v15, v[21:22]
.LBB29_13:                              ;   in Loop: Header=BB29_8 Depth=1
	s_andn2_b64 vcc, exec, s[34:35]
	s_cbranch_vccnz .LBB29_15
; %bb.14:                               ;   in Loop: Header=BB29_8 Depth=1
	s_ashr_i32 s31, s30, 31
	s_lshl_b64 s[30:31], s[30:31], 3
	v_mov_b32_e32 v9, s31
	v_add_co_u32_e32 v21, vcc, s30, v16
	v_addc_co_u32_e32 v22, vcc, v17, v9, vcc
	global_load_dwordx2 v[21:22], v[21:22], off
	s_waitcnt vmcnt(0)
	ds_write_b64 v15, v[21:22]
.LBB29_15:                              ;   in Loop: Header=BB29_8 Depth=1
	s_or_b64 exec, exec, s[16:17]
	s_and_saveexec_b64 s[16:17], s[26:27]
	s_cbranch_execz .LBB29_7
; %bb.16:                               ;   in Loop: Header=BB29_8 Depth=1
	v_ashrrev_i32_e32 v11, 31, v10
	v_lshlrev_b64 v[21:22], 3, v[10:11]
	v_mov_b32_e32 v9, s15
	v_add_co_u32_e32 v21, vcc, s14, v21
	v_addc_co_u32_e32 v22, vcc, v9, v22, vcc
	global_load_dwordx2 v[21:22], v[21:22], off
	s_waitcnt vmcnt(0)
	ds_write_b64 v19, v[21:22]
	s_branch .LBB29_7
.LBB29_17:
	s_and_b64 s[0:1], s[22:23], s[0:1]
	s_and_b64 s[0:1], s[0:1], s[2:3]
	s_and_b64 exec, exec, s[0:1]
	s_cbranch_execz .LBB29_22
; %bb.18:
	s_load_dwordx2 s[0:1], s[4:5], 0x58
	v_lshl_add_u32 v8, s6, 1, v0
	v_cmp_neq_f32_e32 vcc, 0, v2
	v_ashrrev_i32_e32 v9, 31, v8
	s_waitcnt lgkmcnt(0)
	v_mul_lo_u32 v0, s1, v6
	v_mul_lo_u32 v1, s0, v7
	v_mad_u64_u32 v[6:7], s[0:1], s0, v6, 0
	v_cmp_neq_f32_e64 s[0:1], 0, v3
	s_or_b64 s[0:1], vcc, s[0:1]
	v_add3_u32 v7, v7, v1, v0
	v_mul_f32_e64 v0, v14, -v5
	v_mul_f32_e32 v1, v4, v14
	v_lshlrev_b64 v[6:7], 3, v[6:7]
	v_fmac_f32_e32 v0, v4, v18
	v_fmac_f32_e32 v1, v5, v18
	s_and_saveexec_b64 s[2:3], s[0:1]
	s_xor_b64 s[0:1], exec, s[2:3]
	s_cbranch_execz .LBB29_20
; %bb.19:
	v_mov_b32_e32 v4, s11
	v_add_co_u32_e32 v6, vcc, s10, v6
	v_addc_co_u32_e32 v7, vcc, v4, v7, vcc
	v_lshlrev_b64 v[4:5], 3, v[8:9]
                                        ; implicit-def: $vgpr8
	v_add_co_u32_e32 v4, vcc, v6, v4
	v_addc_co_u32_e32 v5, vcc, v7, v5, vcc
	global_load_dwordx2 v[6:7], v[4:5], off
	s_waitcnt vmcnt(0)
	v_fmac_f32_e32 v0, v2, v6
	v_fmac_f32_e32 v1, v3, v6
	v_fma_f32 v0, -v3, v7, v0
	v_fmac_f32_e32 v1, v2, v7
	global_store_dwordx2 v[4:5], v[0:1], off
                                        ; implicit-def: $vgpr6_vgpr7
                                        ; implicit-def: $vgpr0
.LBB29_20:
	s_andn2_saveexec_b64 s[0:1], s[0:1]
	s_cbranch_execz .LBB29_22
; %bb.21:
	v_mov_b32_e32 v2, s11
	v_add_co_u32_e32 v4, vcc, s10, v6
	v_addc_co_u32_e32 v5, vcc, v2, v7, vcc
	v_lshlrev_b64 v[2:3], 3, v[8:9]
	v_add_co_u32_e32 v2, vcc, v4, v2
	v_addc_co_u32_e32 v3, vcc, v5, v3, vcc
	global_store_dwordx2 v[2:3], v[0:1], off
.LBB29_22:
	s_endpgm
	.section	.rodata,"a",@progbits
	.p2align	6, 0x0
	.amdhsa_kernel _ZN9rocsparseL29gebsrmm_small_blockdim_kernelILi2ELi4ELi4ELi16E21rocsparse_complex_numIfEEEv20rocsparse_direction_20rocsparse_operation_iiNS_24const_host_device_scalarIT3_EEPKiS9_PKS6_iiSB_lS7_PS6_l21rocsparse_index_base_b
		.amdhsa_group_segment_fixed_size 640
		.amdhsa_private_segment_fixed_size 0
		.amdhsa_kernarg_size 104
		.amdhsa_user_sgpr_count 6
		.amdhsa_user_sgpr_private_segment_buffer 1
		.amdhsa_user_sgpr_dispatch_ptr 0
		.amdhsa_user_sgpr_queue_ptr 0
		.amdhsa_user_sgpr_kernarg_segment_ptr 1
		.amdhsa_user_sgpr_dispatch_id 0
		.amdhsa_user_sgpr_flat_scratch_init 0
		.amdhsa_user_sgpr_private_segment_size 0
		.amdhsa_uses_dynamic_stack 0
		.amdhsa_system_sgpr_private_segment_wavefront_offset 0
		.amdhsa_system_sgpr_workgroup_id_x 1
		.amdhsa_system_sgpr_workgroup_id_y 1
		.amdhsa_system_sgpr_workgroup_id_z 0
		.amdhsa_system_sgpr_workgroup_info 0
		.amdhsa_system_vgpr_workitem_id 1
		.amdhsa_next_free_vgpr 37
		.amdhsa_next_free_sgpr 36
		.amdhsa_reserve_vcc 1
		.amdhsa_reserve_flat_scratch 0
		.amdhsa_float_round_mode_32 0
		.amdhsa_float_round_mode_16_64 0
		.amdhsa_float_denorm_mode_32 3
		.amdhsa_float_denorm_mode_16_64 3
		.amdhsa_dx10_clamp 1
		.amdhsa_ieee_mode 1
		.amdhsa_fp16_overflow 0
		.amdhsa_exception_fp_ieee_invalid_op 0
		.amdhsa_exception_fp_denorm_src 0
		.amdhsa_exception_fp_ieee_div_zero 0
		.amdhsa_exception_fp_ieee_overflow 0
		.amdhsa_exception_fp_ieee_underflow 0
		.amdhsa_exception_fp_ieee_inexact 0
		.amdhsa_exception_int_div_zero 0
	.end_amdhsa_kernel
	.section	.text._ZN9rocsparseL29gebsrmm_small_blockdim_kernelILi2ELi4ELi4ELi16E21rocsparse_complex_numIfEEEv20rocsparse_direction_20rocsparse_operation_iiNS_24const_host_device_scalarIT3_EEPKiS9_PKS6_iiSB_lS7_PS6_l21rocsparse_index_base_b,"axG",@progbits,_ZN9rocsparseL29gebsrmm_small_blockdim_kernelILi2ELi4ELi4ELi16E21rocsparse_complex_numIfEEEv20rocsparse_direction_20rocsparse_operation_iiNS_24const_host_device_scalarIT3_EEPKiS9_PKS6_iiSB_lS7_PS6_l21rocsparse_index_base_b,comdat
.Lfunc_end29:
	.size	_ZN9rocsparseL29gebsrmm_small_blockdim_kernelILi2ELi4ELi4ELi16E21rocsparse_complex_numIfEEEv20rocsparse_direction_20rocsparse_operation_iiNS_24const_host_device_scalarIT3_EEPKiS9_PKS6_iiSB_lS7_PS6_l21rocsparse_index_base_b, .Lfunc_end29-_ZN9rocsparseL29gebsrmm_small_blockdim_kernelILi2ELi4ELi4ELi16E21rocsparse_complex_numIfEEEv20rocsparse_direction_20rocsparse_operation_iiNS_24const_host_device_scalarIT3_EEPKiS9_PKS6_iiSB_lS7_PS6_l21rocsparse_index_base_b
                                        ; -- End function
	.set _ZN9rocsparseL29gebsrmm_small_blockdim_kernelILi2ELi4ELi4ELi16E21rocsparse_complex_numIfEEEv20rocsparse_direction_20rocsparse_operation_iiNS_24const_host_device_scalarIT3_EEPKiS9_PKS6_iiSB_lS7_PS6_l21rocsparse_index_base_b.num_vgpr, 37
	.set _ZN9rocsparseL29gebsrmm_small_blockdim_kernelILi2ELi4ELi4ELi16E21rocsparse_complex_numIfEEEv20rocsparse_direction_20rocsparse_operation_iiNS_24const_host_device_scalarIT3_EEPKiS9_PKS6_iiSB_lS7_PS6_l21rocsparse_index_base_b.num_agpr, 0
	.set _ZN9rocsparseL29gebsrmm_small_blockdim_kernelILi2ELi4ELi4ELi16E21rocsparse_complex_numIfEEEv20rocsparse_direction_20rocsparse_operation_iiNS_24const_host_device_scalarIT3_EEPKiS9_PKS6_iiSB_lS7_PS6_l21rocsparse_index_base_b.numbered_sgpr, 36
	.set _ZN9rocsparseL29gebsrmm_small_blockdim_kernelILi2ELi4ELi4ELi16E21rocsparse_complex_numIfEEEv20rocsparse_direction_20rocsparse_operation_iiNS_24const_host_device_scalarIT3_EEPKiS9_PKS6_iiSB_lS7_PS6_l21rocsparse_index_base_b.num_named_barrier, 0
	.set _ZN9rocsparseL29gebsrmm_small_blockdim_kernelILi2ELi4ELi4ELi16E21rocsparse_complex_numIfEEEv20rocsparse_direction_20rocsparse_operation_iiNS_24const_host_device_scalarIT3_EEPKiS9_PKS6_iiSB_lS7_PS6_l21rocsparse_index_base_b.private_seg_size, 0
	.set _ZN9rocsparseL29gebsrmm_small_blockdim_kernelILi2ELi4ELi4ELi16E21rocsparse_complex_numIfEEEv20rocsparse_direction_20rocsparse_operation_iiNS_24const_host_device_scalarIT3_EEPKiS9_PKS6_iiSB_lS7_PS6_l21rocsparse_index_base_b.uses_vcc, 1
	.set _ZN9rocsparseL29gebsrmm_small_blockdim_kernelILi2ELi4ELi4ELi16E21rocsparse_complex_numIfEEEv20rocsparse_direction_20rocsparse_operation_iiNS_24const_host_device_scalarIT3_EEPKiS9_PKS6_iiSB_lS7_PS6_l21rocsparse_index_base_b.uses_flat_scratch, 0
	.set _ZN9rocsparseL29gebsrmm_small_blockdim_kernelILi2ELi4ELi4ELi16E21rocsparse_complex_numIfEEEv20rocsparse_direction_20rocsparse_operation_iiNS_24const_host_device_scalarIT3_EEPKiS9_PKS6_iiSB_lS7_PS6_l21rocsparse_index_base_b.has_dyn_sized_stack, 0
	.set _ZN9rocsparseL29gebsrmm_small_blockdim_kernelILi2ELi4ELi4ELi16E21rocsparse_complex_numIfEEEv20rocsparse_direction_20rocsparse_operation_iiNS_24const_host_device_scalarIT3_EEPKiS9_PKS6_iiSB_lS7_PS6_l21rocsparse_index_base_b.has_recursion, 0
	.set _ZN9rocsparseL29gebsrmm_small_blockdim_kernelILi2ELi4ELi4ELi16E21rocsparse_complex_numIfEEEv20rocsparse_direction_20rocsparse_operation_iiNS_24const_host_device_scalarIT3_EEPKiS9_PKS6_iiSB_lS7_PS6_l21rocsparse_index_base_b.has_indirect_call, 0
	.section	.AMDGPU.csdata,"",@progbits
; Kernel info:
; codeLenInByte = 1176
; TotalNumSgprs: 40
; NumVgprs: 37
; ScratchSize: 0
; MemoryBound: 0
; FloatMode: 240
; IeeeMode: 1
; LDSByteSize: 640 bytes/workgroup (compile time only)
; SGPRBlocks: 4
; VGPRBlocks: 9
; NumSGPRsForWavesPerEU: 40
; NumVGPRsForWavesPerEU: 37
; Occupancy: 6
; WaveLimiterHint : 1
; COMPUTE_PGM_RSRC2:SCRATCH_EN: 0
; COMPUTE_PGM_RSRC2:USER_SGPR: 6
; COMPUTE_PGM_RSRC2:TRAP_HANDLER: 0
; COMPUTE_PGM_RSRC2:TGID_X_EN: 1
; COMPUTE_PGM_RSRC2:TGID_Y_EN: 1
; COMPUTE_PGM_RSRC2:TGID_Z_EN: 0
; COMPUTE_PGM_RSRC2:TIDIG_COMP_CNT: 1
	.section	.text._ZN9rocsparseL29gebsrmm_small_blockdim_kernelILi3ELi1ELi3ELi16E21rocsparse_complex_numIfEEEv20rocsparse_direction_20rocsparse_operation_iiNS_24const_host_device_scalarIT3_EEPKiS9_PKS6_iiSB_lS7_PS6_l21rocsparse_index_base_b,"axG",@progbits,_ZN9rocsparseL29gebsrmm_small_blockdim_kernelILi3ELi1ELi3ELi16E21rocsparse_complex_numIfEEEv20rocsparse_direction_20rocsparse_operation_iiNS_24const_host_device_scalarIT3_EEPKiS9_PKS6_iiSB_lS7_PS6_l21rocsparse_index_base_b,comdat
	.globl	_ZN9rocsparseL29gebsrmm_small_blockdim_kernelILi3ELi1ELi3ELi16E21rocsparse_complex_numIfEEEv20rocsparse_direction_20rocsparse_operation_iiNS_24const_host_device_scalarIT3_EEPKiS9_PKS6_iiSB_lS7_PS6_l21rocsparse_index_base_b ; -- Begin function _ZN9rocsparseL29gebsrmm_small_blockdim_kernelILi3ELi1ELi3ELi16E21rocsparse_complex_numIfEEEv20rocsparse_direction_20rocsparse_operation_iiNS_24const_host_device_scalarIT3_EEPKiS9_PKS6_iiSB_lS7_PS6_l21rocsparse_index_base_b
	.p2align	8
	.type	_ZN9rocsparseL29gebsrmm_small_blockdim_kernelILi3ELi1ELi3ELi16E21rocsparse_complex_numIfEEEv20rocsparse_direction_20rocsparse_operation_iiNS_24const_host_device_scalarIT3_EEPKiS9_PKS6_iiSB_lS7_PS6_l21rocsparse_index_base_b,@function
_ZN9rocsparseL29gebsrmm_small_blockdim_kernelILi3ELi1ELi3ELi16E21rocsparse_complex_numIfEEEv20rocsparse_direction_20rocsparse_operation_iiNS_24const_host_device_scalarIT3_EEPKiS9_PKS6_iiSB_lS7_PS6_l21rocsparse_index_base_b: ; @_ZN9rocsparseL29gebsrmm_small_blockdim_kernelILi3ELi1ELi3ELi16E21rocsparse_complex_numIfEEEv20rocsparse_direction_20rocsparse_operation_iiNS_24const_host_device_scalarIT3_EEPKiS9_PKS6_iiSB_lS7_PS6_l21rocsparse_index_base_b
; %bb.0:
	s_load_dwordx2 s[0:1], s[4:5], 0x10
	s_load_dwordx4 s[8:11], s[4:5], 0x40
	s_load_dwordx2 s[20:21], s[4:5], 0x60
	s_add_u32 s2, s4, 16
	s_addc_u32 s3, s5, 0
	s_add_u32 s12, s4, 0x48
	s_addc_u32 s13, s5, 0
	s_waitcnt lgkmcnt(0)
	s_bitcmp1_b32 s21, 0
	s_cselect_b32 s1, s3, s1
	s_cselect_b32 s0, s2, s0
	v_mov_b32_e32 v2, s0
	v_mov_b32_e32 v3, s1
	flat_load_dwordx2 v[4:5], v[2:3]
	s_cselect_b32 s0, s13, s11
	s_cselect_b32 s1, s12, s10
	v_mov_b32_e32 v2, s1
	v_mov_b32_e32 v3, s0
	flat_load_dwordx2 v[2:3], v[2:3]
	s_waitcnt vmcnt(0) lgkmcnt(0)
	v_cmp_eq_f32_e32 vcc, 0, v4
	v_cmp_eq_f32_e64 s[0:1], 0, v5
	s_and_b64 s[10:11], vcc, s[0:1]
	s_mov_b64 s[0:1], -1
	s_and_saveexec_b64 s[2:3], s[10:11]
; %bb.1:
	v_cmp_neq_f32_e32 vcc, 1.0, v2
	v_cmp_neq_f32_e64 s[0:1], 0, v3
	s_or_b64 s[0:1], vcc, s[0:1]
	s_orn2_b64 s[0:1], s[0:1], exec
; %bb.2:
	s_or_b64 exec, exec, s[2:3]
	s_and_saveexec_b64 s[2:3], s[0:1]
	s_cbranch_execz .LBB30_22
; %bb.3:
	s_load_dwordx4 s[16:19], s[4:5], 0x4
	s_mov_b32 s21, 0
	s_mov_b32 s24, 0
	s_waitcnt lgkmcnt(0)
	s_cmp_lt_i32 s6, s17
	s_cselect_b64 s[22:23], -1, 0
	s_cmp_ge_i32 s6, s17
	s_cbranch_scc1 .LBB30_5
; %bb.4:
	s_load_dwordx2 s[2:3], s[4:5], 0x18
	s_mov_b32 s0, s7
	s_ashr_i32 s7, s6, 31
	s_lshl_b64 s[10:11], s[6:7], 2
	s_mov_b32 s7, s0
	s_waitcnt lgkmcnt(0)
	s_add_u32 s0, s2, s10
	s_addc_u32 s1, s3, s11
	s_load_dwordx2 s[2:3], s[0:1], 0x0
	s_waitcnt lgkmcnt(0)
	s_sub_i32 s24, s2, s20
	s_sub_i32 s21, s3, s20
.LBB30_5:
	s_load_dwordx2 s[10:11], s[4:5], 0x50
	v_lshl_add_u32 v6, s7, 4, v1
	v_ashrrev_i32_e32 v7, 31, v6
	v_cmp_gt_i32_e64 s[0:1], s18, v6
	v_cmp_gt_u32_e64 s[2:3], 3, v0
	v_mov_b32_e32 v12, 0
	s_cmp_ge_i32 s24, s21
	v_mov_b32_e32 v13, 0
	s_cbranch_scc1 .LBB30_17
; %bb.6:
	s_load_dwordx4 s[12:15], s[4:5], 0x20
	s_load_dwordx2 s[28:29], s[4:5], 0x38
	v_mul_lo_u32 v13, s9, v6
	v_mul_lo_u32 v16, s8, v7
	v_mad_u64_u32 v[10:11], s[30:31], s8, v6, 0
	v_cmp_ne_u32_e32 vcc, 0, v0
	s_xor_b64 s[18:19], s[0:1], -1
	v_lshlrev_b64 v[8:9], 3, v[6:7]
	s_or_b64 s[18:19], vcc, s[18:19]
	v_cmp_eq_u32_e32 vcc, 0, v1
	s_and_b64 s[26:27], s[2:3], vcc
	s_waitcnt lgkmcnt(0)
	v_mov_b32_e32 v12, s29
	v_add_co_u32_e32 v14, vcc, s28, v8
	v_add3_u32 v11, v11, v16, v13
	v_addc_co_u32_e32 v15, vcc, v12, v9, vcc
	s_cmpk_lg_i32 s16, 0x6f
	v_lshlrev_b64 v[8:9], 3, v[10:11]
	s_cselect_b64 s[16:17], -1, 0
	s_ashr_i32 s25, s24, 31
	v_mul_u32_u24_e32 v12, 3, v1
	v_mov_b32_e32 v10, s29
	v_add_co_u32_e32 v16, vcc, s28, v8
	s_lshl_b64 s[28:29], s[24:25], 2
	v_add_lshl_u32 v1, v12, v0, 3
	v_mov_b32_e32 v8, 0x180
	s_add_u32 s12, s12, s28
	v_addc_co_u32_e32 v17, vcc, v10, v9, vcc
	v_lshl_add_u32 v19, v0, 3, v8
	s_addc_u32 s13, s13, s29
	v_mad_u64_u32 v[8:9], s[28:29], s24, 3, v[0:1]
	v_add_u32_e32 v18, 0x180, v1
	v_lshlrev_b32_e32 v20, 3, v12
	v_mov_b32_e32 v10, 0
	v_mov_b32_e32 v12, 0
	;; [unrolled: 1-line block ×3, first 2 shown]
	s_branch .LBB30_8
.LBB30_7:                               ;   in Loop: Header=BB30_8 Depth=1
	s_or_b64 exec, exec, s[28:29]
	s_waitcnt lgkmcnt(0)
	; wave barrier
	ds_read_b64 v[21:22], v19
	ds_read_b64 v[23:24], v20
	s_add_i32 s24, s24, 1
	s_add_u32 s12, s12, 4
	s_addc_u32 s13, s13, 0
	s_cmp_ge_i32 s24, s21
	s_waitcnt lgkmcnt(0)
	v_fmac_f32_e32 v13, v21, v23
	v_fmac_f32_e32 v12, v22, v23
	v_fma_f32 v13, -v22, v24, v13
	v_fmac_f32_e32 v12, v21, v24
	v_add_u32_e32 v8, 3, v8
	; wave barrier
	s_cbranch_scc1 .LBB30_17
.LBB30_8:                               ; =>This Inner Loop Header: Depth=1
	s_and_saveexec_b64 s[28:29], s[18:19]
	s_xor_b64 s[28:29], exec, s[28:29]
; %bb.9:                                ;   in Loop: Header=BB30_8 Depth=1
	v_mov_b32_e32 v11, v10
	ds_write_b64 v1, v[10:11]
; %bb.10:                               ;   in Loop: Header=BB30_8 Depth=1
	s_andn2_saveexec_b64 s[28:29], s[28:29]
	s_cbranch_execz .LBB30_15
; %bb.11:                               ;   in Loop: Header=BB30_8 Depth=1
	s_load_dword s7, s[12:13], 0x0
	s_mov_b64 s[34:35], -1
	s_and_b64 vcc, exec, s[16:17]
	s_waitcnt lgkmcnt(0)
	s_sub_i32 s30, s7, s20
	s_ashr_i32 s31, s30, 31
	s_cbranch_vccz .LBB30_13
; %bb.12:                               ;   in Loop: Header=BB30_8 Depth=1
	s_mul_i32 s7, s8, s31
	s_mul_hi_u32 s25, s8, s30
	s_add_i32 s7, s25, s7
	s_mul_i32 s25, s9, s30
	s_add_i32 s35, s7, s25
	s_mul_i32 s34, s8, s30
	s_lshl_b64 s[34:35], s[34:35], 3
	v_mov_b32_e32 v9, s35
	v_add_co_u32_e32 v21, vcc, s34, v14
	v_addc_co_u32_e32 v22, vcc, v15, v9, vcc
	global_load_dwordx2 v[21:22], v[21:22], off
	s_mov_b64 s[34:35], 0
	s_waitcnt vmcnt(0)
	ds_write_b64 v1, v[21:22]
.LBB30_13:                              ;   in Loop: Header=BB30_8 Depth=1
	s_andn2_b64 vcc, exec, s[34:35]
	s_cbranch_vccnz .LBB30_15
; %bb.14:                               ;   in Loop: Header=BB30_8 Depth=1
	s_lshl_b64 s[30:31], s[30:31], 3
	v_mov_b32_e32 v9, s31
	v_add_co_u32_e32 v21, vcc, s30, v16
	v_addc_co_u32_e32 v22, vcc, v17, v9, vcc
	global_load_dwordx2 v[21:22], v[21:22], off
	s_waitcnt vmcnt(0)
	ds_write_b64 v1, v[21:22]
.LBB30_15:                              ;   in Loop: Header=BB30_8 Depth=1
	s_or_b64 exec, exec, s[28:29]
	s_and_saveexec_b64 s[28:29], s[26:27]
	s_cbranch_execz .LBB30_7
; %bb.16:                               ;   in Loop: Header=BB30_8 Depth=1
	v_ashrrev_i32_e32 v9, 31, v8
	v_lshlrev_b64 v[21:22], 3, v[8:9]
	v_mov_b32_e32 v9, s15
	v_add_co_u32_e32 v21, vcc, s14, v21
	v_addc_co_u32_e32 v22, vcc, v9, v22, vcc
	global_load_dwordx2 v[21:22], v[21:22], off
	s_waitcnt vmcnt(0)
	ds_write_b64 v18, v[21:22]
	s_branch .LBB30_7
.LBB30_17:
	s_and_b64 s[0:1], s[22:23], s[0:1]
	s_and_b64 s[0:1], s[0:1], s[2:3]
	s_and_b64 exec, exec, s[0:1]
	s_cbranch_execz .LBB30_22
; %bb.18:
	s_load_dwordx2 s[0:1], s[4:5], 0x58
	v_cmp_neq_f32_e32 vcc, 0, v2
	s_waitcnt lgkmcnt(0)
	v_mul_lo_u32 v1, s1, v6
	v_mul_lo_u32 v10, s0, v7
	v_mad_u64_u32 v[8:9], s[0:1], s0, v6, 0
	v_mad_u64_u32 v[6:7], s[0:1], s6, 3, v[0:1]
	v_add3_u32 v9, v9, v10, v1
	v_cmp_neq_f32_e64 s[0:1], 0, v3
	v_mul_f32_e64 v0, v12, -v5
	v_mul_f32_e32 v1, v4, v12
	v_lshlrev_b64 v[8:9], 3, v[8:9]
	s_or_b64 s[0:1], vcc, s[0:1]
	v_ashrrev_i32_e32 v7, 31, v6
	v_fmac_f32_e32 v0, v4, v13
	v_fmac_f32_e32 v1, v5, v13
	s_and_saveexec_b64 s[2:3], s[0:1]
	s_xor_b64 s[0:1], exec, s[2:3]
	s_cbranch_execz .LBB30_20
; %bb.19:
	v_mov_b32_e32 v4, s11
	v_add_co_u32_e32 v8, vcc, s10, v8
	v_addc_co_u32_e32 v9, vcc, v4, v9, vcc
	v_lshlrev_b64 v[4:5], 3, v[6:7]
	v_add_co_u32_e32 v4, vcc, v8, v4
	v_addc_co_u32_e32 v5, vcc, v9, v5, vcc
	global_load_dwordx2 v[6:7], v[4:5], off
                                        ; implicit-def: $vgpr8_vgpr9
	s_waitcnt vmcnt(0)
	v_fmac_f32_e32 v0, v2, v6
	v_fmac_f32_e32 v1, v3, v6
	v_fma_f32 v0, -v3, v7, v0
	v_fmac_f32_e32 v1, v2, v7
	global_store_dwordx2 v[4:5], v[0:1], off
                                        ; implicit-def: $vgpr6_vgpr7
                                        ; implicit-def: $vgpr0
.LBB30_20:
	s_andn2_saveexec_b64 s[0:1], s[0:1]
	s_cbranch_execz .LBB30_22
; %bb.21:
	v_mov_b32_e32 v2, s11
	v_add_co_u32_e32 v4, vcc, s10, v8
	v_addc_co_u32_e32 v5, vcc, v2, v9, vcc
	v_lshlrev_b64 v[2:3], 3, v[6:7]
	v_add_co_u32_e32 v2, vcc, v4, v2
	v_addc_co_u32_e32 v3, vcc, v5, v3, vcc
	global_store_dwordx2 v[2:3], v[0:1], off
.LBB30_22:
	s_endpgm
	.section	.rodata,"a",@progbits
	.p2align	6, 0x0
	.amdhsa_kernel _ZN9rocsparseL29gebsrmm_small_blockdim_kernelILi3ELi1ELi3ELi16E21rocsparse_complex_numIfEEEv20rocsparse_direction_20rocsparse_operation_iiNS_24const_host_device_scalarIT3_EEPKiS9_PKS6_iiSB_lS7_PS6_l21rocsparse_index_base_b
		.amdhsa_group_segment_fixed_size 456
		.amdhsa_private_segment_fixed_size 0
		.amdhsa_kernarg_size 104
		.amdhsa_user_sgpr_count 6
		.amdhsa_user_sgpr_private_segment_buffer 1
		.amdhsa_user_sgpr_dispatch_ptr 0
		.amdhsa_user_sgpr_queue_ptr 0
		.amdhsa_user_sgpr_kernarg_segment_ptr 1
		.amdhsa_user_sgpr_dispatch_id 0
		.amdhsa_user_sgpr_flat_scratch_init 0
		.amdhsa_user_sgpr_private_segment_size 0
		.amdhsa_uses_dynamic_stack 0
		.amdhsa_system_sgpr_private_segment_wavefront_offset 0
		.amdhsa_system_sgpr_workgroup_id_x 1
		.amdhsa_system_sgpr_workgroup_id_y 1
		.amdhsa_system_sgpr_workgroup_id_z 0
		.amdhsa_system_sgpr_workgroup_info 0
		.amdhsa_system_vgpr_workitem_id 1
		.amdhsa_next_free_vgpr 25
		.amdhsa_next_free_sgpr 36
		.amdhsa_reserve_vcc 1
		.amdhsa_reserve_flat_scratch 0
		.amdhsa_float_round_mode_32 0
		.amdhsa_float_round_mode_16_64 0
		.amdhsa_float_denorm_mode_32 3
		.amdhsa_float_denorm_mode_16_64 3
		.amdhsa_dx10_clamp 1
		.amdhsa_ieee_mode 1
		.amdhsa_fp16_overflow 0
		.amdhsa_exception_fp_ieee_invalid_op 0
		.amdhsa_exception_fp_denorm_src 0
		.amdhsa_exception_fp_ieee_div_zero 0
		.amdhsa_exception_fp_ieee_overflow 0
		.amdhsa_exception_fp_ieee_underflow 0
		.amdhsa_exception_fp_ieee_inexact 0
		.amdhsa_exception_int_div_zero 0
	.end_amdhsa_kernel
	.section	.text._ZN9rocsparseL29gebsrmm_small_blockdim_kernelILi3ELi1ELi3ELi16E21rocsparse_complex_numIfEEEv20rocsparse_direction_20rocsparse_operation_iiNS_24const_host_device_scalarIT3_EEPKiS9_PKS6_iiSB_lS7_PS6_l21rocsparse_index_base_b,"axG",@progbits,_ZN9rocsparseL29gebsrmm_small_blockdim_kernelILi3ELi1ELi3ELi16E21rocsparse_complex_numIfEEEv20rocsparse_direction_20rocsparse_operation_iiNS_24const_host_device_scalarIT3_EEPKiS9_PKS6_iiSB_lS7_PS6_l21rocsparse_index_base_b,comdat
.Lfunc_end30:
	.size	_ZN9rocsparseL29gebsrmm_small_blockdim_kernelILi3ELi1ELi3ELi16E21rocsparse_complex_numIfEEEv20rocsparse_direction_20rocsparse_operation_iiNS_24const_host_device_scalarIT3_EEPKiS9_PKS6_iiSB_lS7_PS6_l21rocsparse_index_base_b, .Lfunc_end30-_ZN9rocsparseL29gebsrmm_small_blockdim_kernelILi3ELi1ELi3ELi16E21rocsparse_complex_numIfEEEv20rocsparse_direction_20rocsparse_operation_iiNS_24const_host_device_scalarIT3_EEPKiS9_PKS6_iiSB_lS7_PS6_l21rocsparse_index_base_b
                                        ; -- End function
	.set _ZN9rocsparseL29gebsrmm_small_blockdim_kernelILi3ELi1ELi3ELi16E21rocsparse_complex_numIfEEEv20rocsparse_direction_20rocsparse_operation_iiNS_24const_host_device_scalarIT3_EEPKiS9_PKS6_iiSB_lS7_PS6_l21rocsparse_index_base_b.num_vgpr, 25
	.set _ZN9rocsparseL29gebsrmm_small_blockdim_kernelILi3ELi1ELi3ELi16E21rocsparse_complex_numIfEEEv20rocsparse_direction_20rocsparse_operation_iiNS_24const_host_device_scalarIT3_EEPKiS9_PKS6_iiSB_lS7_PS6_l21rocsparse_index_base_b.num_agpr, 0
	.set _ZN9rocsparseL29gebsrmm_small_blockdim_kernelILi3ELi1ELi3ELi16E21rocsparse_complex_numIfEEEv20rocsparse_direction_20rocsparse_operation_iiNS_24const_host_device_scalarIT3_EEPKiS9_PKS6_iiSB_lS7_PS6_l21rocsparse_index_base_b.numbered_sgpr, 36
	.set _ZN9rocsparseL29gebsrmm_small_blockdim_kernelILi3ELi1ELi3ELi16E21rocsparse_complex_numIfEEEv20rocsparse_direction_20rocsparse_operation_iiNS_24const_host_device_scalarIT3_EEPKiS9_PKS6_iiSB_lS7_PS6_l21rocsparse_index_base_b.num_named_barrier, 0
	.set _ZN9rocsparseL29gebsrmm_small_blockdim_kernelILi3ELi1ELi3ELi16E21rocsparse_complex_numIfEEEv20rocsparse_direction_20rocsparse_operation_iiNS_24const_host_device_scalarIT3_EEPKiS9_PKS6_iiSB_lS7_PS6_l21rocsparse_index_base_b.private_seg_size, 0
	.set _ZN9rocsparseL29gebsrmm_small_blockdim_kernelILi3ELi1ELi3ELi16E21rocsparse_complex_numIfEEEv20rocsparse_direction_20rocsparse_operation_iiNS_24const_host_device_scalarIT3_EEPKiS9_PKS6_iiSB_lS7_PS6_l21rocsparse_index_base_b.uses_vcc, 1
	.set _ZN9rocsparseL29gebsrmm_small_blockdim_kernelILi3ELi1ELi3ELi16E21rocsparse_complex_numIfEEEv20rocsparse_direction_20rocsparse_operation_iiNS_24const_host_device_scalarIT3_EEPKiS9_PKS6_iiSB_lS7_PS6_l21rocsparse_index_base_b.uses_flat_scratch, 0
	.set _ZN9rocsparseL29gebsrmm_small_blockdim_kernelILi3ELi1ELi3ELi16E21rocsparse_complex_numIfEEEv20rocsparse_direction_20rocsparse_operation_iiNS_24const_host_device_scalarIT3_EEPKiS9_PKS6_iiSB_lS7_PS6_l21rocsparse_index_base_b.has_dyn_sized_stack, 0
	.set _ZN9rocsparseL29gebsrmm_small_blockdim_kernelILi3ELi1ELi3ELi16E21rocsparse_complex_numIfEEEv20rocsparse_direction_20rocsparse_operation_iiNS_24const_host_device_scalarIT3_EEPKiS9_PKS6_iiSB_lS7_PS6_l21rocsparse_index_base_b.has_recursion, 0
	.set _ZN9rocsparseL29gebsrmm_small_blockdim_kernelILi3ELi1ELi3ELi16E21rocsparse_complex_numIfEEEv20rocsparse_direction_20rocsparse_operation_iiNS_24const_host_device_scalarIT3_EEPKiS9_PKS6_iiSB_lS7_PS6_l21rocsparse_index_base_b.has_indirect_call, 0
	.section	.AMDGPU.csdata,"",@progbits
; Kernel info:
; codeLenInByte = 1048
; TotalNumSgprs: 40
; NumVgprs: 25
; ScratchSize: 0
; MemoryBound: 0
; FloatMode: 240
; IeeeMode: 1
; LDSByteSize: 456 bytes/workgroup (compile time only)
; SGPRBlocks: 4
; VGPRBlocks: 6
; NumSGPRsForWavesPerEU: 40
; NumVGPRsForWavesPerEU: 25
; Occupancy: 9
; WaveLimiterHint : 1
; COMPUTE_PGM_RSRC2:SCRATCH_EN: 0
; COMPUTE_PGM_RSRC2:USER_SGPR: 6
; COMPUTE_PGM_RSRC2:TRAP_HANDLER: 0
; COMPUTE_PGM_RSRC2:TGID_X_EN: 1
; COMPUTE_PGM_RSRC2:TGID_Y_EN: 1
; COMPUTE_PGM_RSRC2:TGID_Z_EN: 0
; COMPUTE_PGM_RSRC2:TIDIG_COMP_CNT: 1
	.section	.text._ZN9rocsparseL29gebsrmm_small_blockdim_kernelILi3ELi2ELi3ELi16E21rocsparse_complex_numIfEEEv20rocsparse_direction_20rocsparse_operation_iiNS_24const_host_device_scalarIT3_EEPKiS9_PKS6_iiSB_lS7_PS6_l21rocsparse_index_base_b,"axG",@progbits,_ZN9rocsparseL29gebsrmm_small_blockdim_kernelILi3ELi2ELi3ELi16E21rocsparse_complex_numIfEEEv20rocsparse_direction_20rocsparse_operation_iiNS_24const_host_device_scalarIT3_EEPKiS9_PKS6_iiSB_lS7_PS6_l21rocsparse_index_base_b,comdat
	.globl	_ZN9rocsparseL29gebsrmm_small_blockdim_kernelILi3ELi2ELi3ELi16E21rocsparse_complex_numIfEEEv20rocsparse_direction_20rocsparse_operation_iiNS_24const_host_device_scalarIT3_EEPKiS9_PKS6_iiSB_lS7_PS6_l21rocsparse_index_base_b ; -- Begin function _ZN9rocsparseL29gebsrmm_small_blockdim_kernelILi3ELi2ELi3ELi16E21rocsparse_complex_numIfEEEv20rocsparse_direction_20rocsparse_operation_iiNS_24const_host_device_scalarIT3_EEPKiS9_PKS6_iiSB_lS7_PS6_l21rocsparse_index_base_b
	.p2align	8
	.type	_ZN9rocsparseL29gebsrmm_small_blockdim_kernelILi3ELi2ELi3ELi16E21rocsparse_complex_numIfEEEv20rocsparse_direction_20rocsparse_operation_iiNS_24const_host_device_scalarIT3_EEPKiS9_PKS6_iiSB_lS7_PS6_l21rocsparse_index_base_b,@function
_ZN9rocsparseL29gebsrmm_small_blockdim_kernelILi3ELi2ELi3ELi16E21rocsparse_complex_numIfEEEv20rocsparse_direction_20rocsparse_operation_iiNS_24const_host_device_scalarIT3_EEPKiS9_PKS6_iiSB_lS7_PS6_l21rocsparse_index_base_b: ; @_ZN9rocsparseL29gebsrmm_small_blockdim_kernelILi3ELi2ELi3ELi16E21rocsparse_complex_numIfEEEv20rocsparse_direction_20rocsparse_operation_iiNS_24const_host_device_scalarIT3_EEPKiS9_PKS6_iiSB_lS7_PS6_l21rocsparse_index_base_b
; %bb.0:
	s_load_dwordx2 s[0:1], s[4:5], 0x10
	s_load_dwordx4 s[8:11], s[4:5], 0x40
	s_load_dwordx2 s[20:21], s[4:5], 0x60
	s_add_u32 s2, s4, 16
	s_addc_u32 s3, s5, 0
	s_add_u32 s12, s4, 0x48
	s_addc_u32 s13, s5, 0
	s_waitcnt lgkmcnt(0)
	s_bitcmp1_b32 s21, 0
	s_cselect_b32 s1, s3, s1
	s_cselect_b32 s0, s2, s0
	v_mov_b32_e32 v2, s0
	v_mov_b32_e32 v3, s1
	flat_load_dwordx2 v[4:5], v[2:3]
	s_cselect_b32 s0, s13, s11
	s_cselect_b32 s1, s12, s10
	v_mov_b32_e32 v2, s1
	v_mov_b32_e32 v3, s0
	flat_load_dwordx2 v[2:3], v[2:3]
	s_waitcnt vmcnt(0) lgkmcnt(0)
	v_cmp_eq_f32_e32 vcc, 0, v4
	v_cmp_eq_f32_e64 s[0:1], 0, v5
	s_and_b64 s[10:11], vcc, s[0:1]
	s_mov_b64 s[0:1], -1
	s_and_saveexec_b64 s[2:3], s[10:11]
; %bb.1:
	v_cmp_neq_f32_e32 vcc, 1.0, v2
	v_cmp_neq_f32_e64 s[0:1], 0, v3
	s_or_b64 s[0:1], vcc, s[0:1]
	s_orn2_b64 s[0:1], s[0:1], exec
; %bb.2:
	s_or_b64 exec, exec, s[2:3]
	s_and_saveexec_b64 s[2:3], s[0:1]
	s_cbranch_execz .LBB31_22
; %bb.3:
	s_load_dwordx4 s[16:19], s[4:5], 0x0
	s_mov_b32 s21, 0
	s_waitcnt lgkmcnt(0)
	s_cmp_lt_i32 s6, s18
	s_cselect_b64 s[22:23], -1, 0
	s_cmp_ge_i32 s6, s18
	s_mov_b32 s18, 0
	s_cbranch_scc1 .LBB31_5
; %bb.4:
	s_load_dwordx2 s[2:3], s[4:5], 0x18
	s_mov_b32 s0, s7
	s_ashr_i32 s7, s6, 31
	s_lshl_b64 s[10:11], s[6:7], 2
	s_mov_b32 s7, s0
	s_waitcnt lgkmcnt(0)
	s_add_u32 s0, s2, s10
	s_addc_u32 s1, s3, s11
	s_load_dwordx2 s[2:3], s[0:1], 0x0
	s_waitcnt lgkmcnt(0)
	s_sub_i32 s18, s2, s20
	s_sub_i32 s21, s3, s20
.LBB31_5:
	s_load_dwordx2 s[10:11], s[4:5], 0x50
	v_lshl_add_u32 v6, s7, 4, v1
	v_ashrrev_i32_e32 v7, 31, v6
	v_cmp_gt_i32_e64 s[0:1], s19, v6
	v_cmp_gt_u32_e64 s[2:3], 3, v0
	v_mov_b32_e32 v14, 0
	s_cmp_ge_i32 s18, s21
	v_mov_b32_e32 v16, 0
	s_cbranch_scc1 .LBB31_17
; %bb.6:
	s_load_dwordx4 s[12:15], s[4:5], 0x20
	s_load_dwordx2 s[30:31], s[4:5], 0x38
	v_mul_lo_u32 v14, s9, v6
	v_mul_lo_u32 v15, s8, v7
	v_mad_u64_u32 v[10:11], s[28:29], s8, v6, 0
	v_cmp_lt_u32_e32 vcc, 1, v0
	s_xor_b64 s[24:25], s[0:1], -1
	v_lshlrev_b64 v[8:9], 3, v[6:7]
	s_or_b64 s[24:25], s[24:25], vcc
	v_cmp_gt_u32_e32 vcc, 2, v1
	s_and_b64 s[26:27], s[2:3], vcc
	s_waitcnt lgkmcnt(0)
	v_mov_b32_e32 v13, s31
	v_add_co_u32_e32 v12, vcc, s30, v8
	v_add3_u32 v11, v11, v15, v14
	v_addc_co_u32_e32 v13, vcc, v13, v9, vcc
	v_lshlrev_b64 v[8:9], 3, v[10:11]
	v_mov_b32_e32 v10, s31
	v_add_co_u32_e32 v11, vcc, s30, v8
	v_addc_co_u32_e32 v9, vcc, v10, v9, vcc
	v_lshlrev_b32_e32 v10, 3, v0
	s_cmpk_lg_i32 s17, 0x6f
	v_add_co_u32_e32 v17, vcc, v11, v10
	s_cselect_b64 s[28:29], -1, 0
	v_addc_co_u32_e32 v18, vcc, 0, v9, vcc
	s_cmp_eq_u32 s16, 0
	v_mad_u32_u24 v16, v1, 3, v0
	v_lshl_add_u32 v9, v0, 1, v1
	s_cselect_b64 vcc, -1, 0
	v_cndmask_b32_e32 v9, v16, v9, vcc
	v_mul_u32_u24_e32 v14, 3, v1
	v_add_u32_e32 v1, 0x180, v10
	s_ashr_i32 s19, s18, 31
	v_mad_u64_u32 v[10:11], s[30:31], s18, 6, v[9:10]
	s_lshl_b64 s[16:17], s[18:19], 2
	v_lshlrev_b32_e32 v15, 3, v16
	s_add_u32 s12, s12, s16
	v_mov_b32_e32 v8, 0
	v_add_u32_e32 v19, 0x180, v15
	v_lshlrev_b32_e32 v20, 3, v14
	s_addc_u32 s13, s13, s17
	v_mov_b32_e32 v14, 0
	v_mov_b32_e32 v16, 0
	s_branch .LBB31_8
.LBB31_7:                               ;   in Loop: Header=BB31_8 Depth=1
	s_or_b64 exec, exec, s[16:17]
	s_waitcnt lgkmcnt(0)
	; wave barrier
	ds_read2_b64 v[21:24], v1 offset1:3
	ds_read2_b64 v[25:28], v20 offset1:1
	s_add_i32 s18, s18, 1
	s_add_u32 s12, s12, 4
	s_addc_u32 s13, s13, 0
	s_cmp_ge_i32 s18, s21
	s_waitcnt lgkmcnt(0)
	v_fmac_f32_e32 v16, v21, v25
	v_fmac_f32_e32 v14, v22, v25
	v_fma_f32 v9, -v22, v26, v16
	v_fmac_f32_e32 v14, v21, v26
	v_fmac_f32_e32 v9, v23, v27
	;; [unrolled: 1-line block ×3, first 2 shown]
	v_fma_f32 v16, -v24, v28, v9
	v_fmac_f32_e32 v14, v23, v28
	v_add_u32_e32 v10, 6, v10
	; wave barrier
	s_cbranch_scc1 .LBB31_17
.LBB31_8:                               ; =>This Inner Loop Header: Depth=1
	s_and_saveexec_b64 s[16:17], s[24:25]
	s_xor_b64 s[16:17], exec, s[16:17]
; %bb.9:                                ;   in Loop: Header=BB31_8 Depth=1
	v_mov_b32_e32 v9, v8
	ds_write_b64 v15, v[8:9]
; %bb.10:                               ;   in Loop: Header=BB31_8 Depth=1
	s_andn2_saveexec_b64 s[16:17], s[16:17]
	s_cbranch_execz .LBB31_15
; %bb.11:                               ;   in Loop: Header=BB31_8 Depth=1
	s_load_dword s7, s[12:13], 0x0
	s_mov_b64 s[34:35], -1
	s_and_b64 vcc, exec, s[28:29]
	s_waitcnt lgkmcnt(0)
	s_sub_i32 s7, s7, s20
	s_lshl_b32 s30, s7, 1
	s_cbranch_vccz .LBB31_13
; %bb.12:                               ;   in Loop: Header=BB31_8 Depth=1
	v_or_b32_e32 v9, s30, v0
	v_mul_lo_u32 v11, s9, v9
	v_mad_u64_u32 v[21:22], s[34:35], s8, v9, 0
	s_ashr_i32 s7, s30, 31
	s_mul_i32 s7, s8, s7
	v_add3_u32 v22, v22, s7, v11
	v_lshlrev_b64 v[21:22], 3, v[21:22]
	s_mov_b64 s[34:35], 0
	v_add_co_u32_e32 v21, vcc, v12, v21
	v_addc_co_u32_e32 v22, vcc, v13, v22, vcc
	global_load_dwordx2 v[21:22], v[21:22], off
	s_waitcnt vmcnt(0)
	ds_write_b64 v15, v[21:22]
.LBB31_13:                              ;   in Loop: Header=BB31_8 Depth=1
	s_andn2_b64 vcc, exec, s[34:35]
	s_cbranch_vccnz .LBB31_15
; %bb.14:                               ;   in Loop: Header=BB31_8 Depth=1
	s_ashr_i32 s31, s30, 31
	s_lshl_b64 s[30:31], s[30:31], 3
	v_mov_b32_e32 v9, s31
	v_add_co_u32_e32 v21, vcc, s30, v17
	v_addc_co_u32_e32 v22, vcc, v18, v9, vcc
	global_load_dwordx2 v[21:22], v[21:22], off
	s_waitcnt vmcnt(0)
	ds_write_b64 v15, v[21:22]
.LBB31_15:                              ;   in Loop: Header=BB31_8 Depth=1
	s_or_b64 exec, exec, s[16:17]
	s_and_saveexec_b64 s[16:17], s[26:27]
	s_cbranch_execz .LBB31_7
; %bb.16:                               ;   in Loop: Header=BB31_8 Depth=1
	v_ashrrev_i32_e32 v11, 31, v10
	v_lshlrev_b64 v[21:22], 3, v[10:11]
	v_mov_b32_e32 v9, s15
	v_add_co_u32_e32 v21, vcc, s14, v21
	v_addc_co_u32_e32 v22, vcc, v9, v22, vcc
	global_load_dwordx2 v[21:22], v[21:22], off
	s_waitcnt vmcnt(0)
	ds_write_b64 v19, v[21:22]
	s_branch .LBB31_7
.LBB31_17:
	s_and_b64 s[0:1], s[22:23], s[0:1]
	s_and_b64 s[0:1], s[0:1], s[2:3]
	s_and_b64 exec, exec, s[0:1]
	s_cbranch_execz .LBB31_22
; %bb.18:
	s_load_dwordx2 s[0:1], s[4:5], 0x58
	v_cmp_neq_f32_e32 vcc, 0, v2
	s_waitcnt lgkmcnt(0)
	v_mul_lo_u32 v1, s1, v6
	v_mul_lo_u32 v10, s0, v7
	v_mad_u64_u32 v[8:9], s[0:1], s0, v6, 0
	v_mad_u64_u32 v[6:7], s[0:1], s6, 3, v[0:1]
	v_add3_u32 v9, v9, v10, v1
	v_cmp_neq_f32_e64 s[0:1], 0, v3
	v_mul_f32_e64 v0, v14, -v5
	v_mul_f32_e32 v1, v4, v14
	v_lshlrev_b64 v[8:9], 3, v[8:9]
	s_or_b64 s[0:1], vcc, s[0:1]
	v_ashrrev_i32_e32 v7, 31, v6
	v_fmac_f32_e32 v0, v4, v16
	v_fmac_f32_e32 v1, v5, v16
	s_and_saveexec_b64 s[2:3], s[0:1]
	s_xor_b64 s[0:1], exec, s[2:3]
	s_cbranch_execz .LBB31_20
; %bb.19:
	v_mov_b32_e32 v4, s11
	v_add_co_u32_e32 v8, vcc, s10, v8
	v_addc_co_u32_e32 v9, vcc, v4, v9, vcc
	v_lshlrev_b64 v[4:5], 3, v[6:7]
	v_add_co_u32_e32 v4, vcc, v8, v4
	v_addc_co_u32_e32 v5, vcc, v9, v5, vcc
	global_load_dwordx2 v[6:7], v[4:5], off
                                        ; implicit-def: $vgpr8_vgpr9
	s_waitcnt vmcnt(0)
	v_fmac_f32_e32 v0, v2, v6
	v_fmac_f32_e32 v1, v3, v6
	v_fma_f32 v0, -v3, v7, v0
	v_fmac_f32_e32 v1, v2, v7
	global_store_dwordx2 v[4:5], v[0:1], off
                                        ; implicit-def: $vgpr6_vgpr7
                                        ; implicit-def: $vgpr0
.LBB31_20:
	s_andn2_saveexec_b64 s[0:1], s[0:1]
	s_cbranch_execz .LBB31_22
; %bb.21:
	v_mov_b32_e32 v2, s11
	v_add_co_u32_e32 v4, vcc, s10, v8
	v_addc_co_u32_e32 v5, vcc, v2, v9, vcc
	v_lshlrev_b64 v[2:3], 3, v[6:7]
	v_add_co_u32_e32 v2, vcc, v4, v2
	v_addc_co_u32_e32 v3, vcc, v5, v3, vcc
	global_store_dwordx2 v[2:3], v[0:1], off
.LBB31_22:
	s_endpgm
	.section	.rodata,"a",@progbits
	.p2align	6, 0x0
	.amdhsa_kernel _ZN9rocsparseL29gebsrmm_small_blockdim_kernelILi3ELi2ELi3ELi16E21rocsparse_complex_numIfEEEv20rocsparse_direction_20rocsparse_operation_iiNS_24const_host_device_scalarIT3_EEPKiS9_PKS6_iiSB_lS7_PS6_l21rocsparse_index_base_b
		.amdhsa_group_segment_fixed_size 456
		.amdhsa_private_segment_fixed_size 0
		.amdhsa_kernarg_size 104
		.amdhsa_user_sgpr_count 6
		.amdhsa_user_sgpr_private_segment_buffer 1
		.amdhsa_user_sgpr_dispatch_ptr 0
		.amdhsa_user_sgpr_queue_ptr 0
		.amdhsa_user_sgpr_kernarg_segment_ptr 1
		.amdhsa_user_sgpr_dispatch_id 0
		.amdhsa_user_sgpr_flat_scratch_init 0
		.amdhsa_user_sgpr_private_segment_size 0
		.amdhsa_uses_dynamic_stack 0
		.amdhsa_system_sgpr_private_segment_wavefront_offset 0
		.amdhsa_system_sgpr_workgroup_id_x 1
		.amdhsa_system_sgpr_workgroup_id_y 1
		.amdhsa_system_sgpr_workgroup_id_z 0
		.amdhsa_system_sgpr_workgroup_info 0
		.amdhsa_system_vgpr_workitem_id 1
		.amdhsa_next_free_vgpr 29
		.amdhsa_next_free_sgpr 36
		.amdhsa_reserve_vcc 1
		.amdhsa_reserve_flat_scratch 0
		.amdhsa_float_round_mode_32 0
		.amdhsa_float_round_mode_16_64 0
		.amdhsa_float_denorm_mode_32 3
		.amdhsa_float_denorm_mode_16_64 3
		.amdhsa_dx10_clamp 1
		.amdhsa_ieee_mode 1
		.amdhsa_fp16_overflow 0
		.amdhsa_exception_fp_ieee_invalid_op 0
		.amdhsa_exception_fp_denorm_src 0
		.amdhsa_exception_fp_ieee_div_zero 0
		.amdhsa_exception_fp_ieee_overflow 0
		.amdhsa_exception_fp_ieee_underflow 0
		.amdhsa_exception_fp_ieee_inexact 0
		.amdhsa_exception_int_div_zero 0
	.end_amdhsa_kernel
	.section	.text._ZN9rocsparseL29gebsrmm_small_blockdim_kernelILi3ELi2ELi3ELi16E21rocsparse_complex_numIfEEEv20rocsparse_direction_20rocsparse_operation_iiNS_24const_host_device_scalarIT3_EEPKiS9_PKS6_iiSB_lS7_PS6_l21rocsparse_index_base_b,"axG",@progbits,_ZN9rocsparseL29gebsrmm_small_blockdim_kernelILi3ELi2ELi3ELi16E21rocsparse_complex_numIfEEEv20rocsparse_direction_20rocsparse_operation_iiNS_24const_host_device_scalarIT3_EEPKiS9_PKS6_iiSB_lS7_PS6_l21rocsparse_index_base_b,comdat
.Lfunc_end31:
	.size	_ZN9rocsparseL29gebsrmm_small_blockdim_kernelILi3ELi2ELi3ELi16E21rocsparse_complex_numIfEEEv20rocsparse_direction_20rocsparse_operation_iiNS_24const_host_device_scalarIT3_EEPKiS9_PKS6_iiSB_lS7_PS6_l21rocsparse_index_base_b, .Lfunc_end31-_ZN9rocsparseL29gebsrmm_small_blockdim_kernelILi3ELi2ELi3ELi16E21rocsparse_complex_numIfEEEv20rocsparse_direction_20rocsparse_operation_iiNS_24const_host_device_scalarIT3_EEPKiS9_PKS6_iiSB_lS7_PS6_l21rocsparse_index_base_b
                                        ; -- End function
	.set _ZN9rocsparseL29gebsrmm_small_blockdim_kernelILi3ELi2ELi3ELi16E21rocsparse_complex_numIfEEEv20rocsparse_direction_20rocsparse_operation_iiNS_24const_host_device_scalarIT3_EEPKiS9_PKS6_iiSB_lS7_PS6_l21rocsparse_index_base_b.num_vgpr, 29
	.set _ZN9rocsparseL29gebsrmm_small_blockdim_kernelILi3ELi2ELi3ELi16E21rocsparse_complex_numIfEEEv20rocsparse_direction_20rocsparse_operation_iiNS_24const_host_device_scalarIT3_EEPKiS9_PKS6_iiSB_lS7_PS6_l21rocsparse_index_base_b.num_agpr, 0
	.set _ZN9rocsparseL29gebsrmm_small_blockdim_kernelILi3ELi2ELi3ELi16E21rocsparse_complex_numIfEEEv20rocsparse_direction_20rocsparse_operation_iiNS_24const_host_device_scalarIT3_EEPKiS9_PKS6_iiSB_lS7_PS6_l21rocsparse_index_base_b.numbered_sgpr, 36
	.set _ZN9rocsparseL29gebsrmm_small_blockdim_kernelILi3ELi2ELi3ELi16E21rocsparse_complex_numIfEEEv20rocsparse_direction_20rocsparse_operation_iiNS_24const_host_device_scalarIT3_EEPKiS9_PKS6_iiSB_lS7_PS6_l21rocsparse_index_base_b.num_named_barrier, 0
	.set _ZN9rocsparseL29gebsrmm_small_blockdim_kernelILi3ELi2ELi3ELi16E21rocsparse_complex_numIfEEEv20rocsparse_direction_20rocsparse_operation_iiNS_24const_host_device_scalarIT3_EEPKiS9_PKS6_iiSB_lS7_PS6_l21rocsparse_index_base_b.private_seg_size, 0
	.set _ZN9rocsparseL29gebsrmm_small_blockdim_kernelILi3ELi2ELi3ELi16E21rocsparse_complex_numIfEEEv20rocsparse_direction_20rocsparse_operation_iiNS_24const_host_device_scalarIT3_EEPKiS9_PKS6_iiSB_lS7_PS6_l21rocsparse_index_base_b.uses_vcc, 1
	.set _ZN9rocsparseL29gebsrmm_small_blockdim_kernelILi3ELi2ELi3ELi16E21rocsparse_complex_numIfEEEv20rocsparse_direction_20rocsparse_operation_iiNS_24const_host_device_scalarIT3_EEPKiS9_PKS6_iiSB_lS7_PS6_l21rocsparse_index_base_b.uses_flat_scratch, 0
	.set _ZN9rocsparseL29gebsrmm_small_blockdim_kernelILi3ELi2ELi3ELi16E21rocsparse_complex_numIfEEEv20rocsparse_direction_20rocsparse_operation_iiNS_24const_host_device_scalarIT3_EEPKiS9_PKS6_iiSB_lS7_PS6_l21rocsparse_index_base_b.has_dyn_sized_stack, 0
	.set _ZN9rocsparseL29gebsrmm_small_blockdim_kernelILi3ELi2ELi3ELi16E21rocsparse_complex_numIfEEEv20rocsparse_direction_20rocsparse_operation_iiNS_24const_host_device_scalarIT3_EEPKiS9_PKS6_iiSB_lS7_PS6_l21rocsparse_index_base_b.has_recursion, 0
	.set _ZN9rocsparseL29gebsrmm_small_blockdim_kernelILi3ELi2ELi3ELi16E21rocsparse_complex_numIfEEEv20rocsparse_direction_20rocsparse_operation_iiNS_24const_host_device_scalarIT3_EEPKiS9_PKS6_iiSB_lS7_PS6_l21rocsparse_index_base_b.has_indirect_call, 0
	.section	.AMDGPU.csdata,"",@progbits
; Kernel info:
; codeLenInByte = 1112
; TotalNumSgprs: 40
; NumVgprs: 29
; ScratchSize: 0
; MemoryBound: 0
; FloatMode: 240
; IeeeMode: 1
; LDSByteSize: 456 bytes/workgroup (compile time only)
; SGPRBlocks: 4
; VGPRBlocks: 7
; NumSGPRsForWavesPerEU: 40
; NumVGPRsForWavesPerEU: 29
; Occupancy: 8
; WaveLimiterHint : 1
; COMPUTE_PGM_RSRC2:SCRATCH_EN: 0
; COMPUTE_PGM_RSRC2:USER_SGPR: 6
; COMPUTE_PGM_RSRC2:TRAP_HANDLER: 0
; COMPUTE_PGM_RSRC2:TGID_X_EN: 1
; COMPUTE_PGM_RSRC2:TGID_Y_EN: 1
; COMPUTE_PGM_RSRC2:TGID_Z_EN: 0
; COMPUTE_PGM_RSRC2:TIDIG_COMP_CNT: 1
	.section	.text._ZN9rocsparseL29gebsrmm_small_blockdim_kernelILi3ELi4ELi4ELi16E21rocsparse_complex_numIfEEEv20rocsparse_direction_20rocsparse_operation_iiNS_24const_host_device_scalarIT3_EEPKiS9_PKS6_iiSB_lS7_PS6_l21rocsparse_index_base_b,"axG",@progbits,_ZN9rocsparseL29gebsrmm_small_blockdim_kernelILi3ELi4ELi4ELi16E21rocsparse_complex_numIfEEEv20rocsparse_direction_20rocsparse_operation_iiNS_24const_host_device_scalarIT3_EEPKiS9_PKS6_iiSB_lS7_PS6_l21rocsparse_index_base_b,comdat
	.globl	_ZN9rocsparseL29gebsrmm_small_blockdim_kernelILi3ELi4ELi4ELi16E21rocsparse_complex_numIfEEEv20rocsparse_direction_20rocsparse_operation_iiNS_24const_host_device_scalarIT3_EEPKiS9_PKS6_iiSB_lS7_PS6_l21rocsparse_index_base_b ; -- Begin function _ZN9rocsparseL29gebsrmm_small_blockdim_kernelILi3ELi4ELi4ELi16E21rocsparse_complex_numIfEEEv20rocsparse_direction_20rocsparse_operation_iiNS_24const_host_device_scalarIT3_EEPKiS9_PKS6_iiSB_lS7_PS6_l21rocsparse_index_base_b
	.p2align	8
	.type	_ZN9rocsparseL29gebsrmm_small_blockdim_kernelILi3ELi4ELi4ELi16E21rocsparse_complex_numIfEEEv20rocsparse_direction_20rocsparse_operation_iiNS_24const_host_device_scalarIT3_EEPKiS9_PKS6_iiSB_lS7_PS6_l21rocsparse_index_base_b,@function
_ZN9rocsparseL29gebsrmm_small_blockdim_kernelILi3ELi4ELi4ELi16E21rocsparse_complex_numIfEEEv20rocsparse_direction_20rocsparse_operation_iiNS_24const_host_device_scalarIT3_EEPKiS9_PKS6_iiSB_lS7_PS6_l21rocsparse_index_base_b: ; @_ZN9rocsparseL29gebsrmm_small_blockdim_kernelILi3ELi4ELi4ELi16E21rocsparse_complex_numIfEEEv20rocsparse_direction_20rocsparse_operation_iiNS_24const_host_device_scalarIT3_EEPKiS9_PKS6_iiSB_lS7_PS6_l21rocsparse_index_base_b
; %bb.0:
	s_load_dwordx2 s[0:1], s[4:5], 0x10
	s_load_dwordx4 s[8:11], s[4:5], 0x40
	s_load_dwordx2 s[20:21], s[4:5], 0x60
	s_add_u32 s2, s4, 16
	s_addc_u32 s3, s5, 0
	s_add_u32 s12, s4, 0x48
	s_addc_u32 s13, s5, 0
	s_waitcnt lgkmcnt(0)
	s_bitcmp1_b32 s21, 0
	s_cselect_b32 s1, s3, s1
	s_cselect_b32 s0, s2, s0
	v_mov_b32_e32 v2, s0
	v_mov_b32_e32 v3, s1
	flat_load_dwordx2 v[4:5], v[2:3]
	s_cselect_b32 s0, s13, s11
	s_cselect_b32 s1, s12, s10
	v_mov_b32_e32 v2, s1
	v_mov_b32_e32 v3, s0
	flat_load_dwordx2 v[2:3], v[2:3]
	s_waitcnt vmcnt(0) lgkmcnt(0)
	v_cmp_eq_f32_e32 vcc, 0, v4
	v_cmp_eq_f32_e64 s[0:1], 0, v5
	s_and_b64 s[10:11], vcc, s[0:1]
	s_mov_b64 s[0:1], -1
	s_and_saveexec_b64 s[2:3], s[10:11]
; %bb.1:
	v_cmp_neq_f32_e32 vcc, 1.0, v2
	v_cmp_neq_f32_e64 s[0:1], 0, v3
	s_or_b64 s[0:1], vcc, s[0:1]
	s_orn2_b64 s[0:1], s[0:1], exec
; %bb.2:
	s_or_b64 exec, exec, s[2:3]
	s_and_saveexec_b64 s[2:3], s[0:1]
	s_cbranch_execz .LBB32_22
; %bb.3:
	s_load_dwordx4 s[16:19], s[4:5], 0x0
	s_mov_b32 s21, 0
	s_waitcnt lgkmcnt(0)
	s_cmp_lt_i32 s6, s18
	s_cselect_b64 s[22:23], -1, 0
	s_cmp_ge_i32 s6, s18
	s_mov_b32 s18, 0
	s_cbranch_scc1 .LBB32_5
; %bb.4:
	s_load_dwordx2 s[2:3], s[4:5], 0x18
	s_mov_b32 s0, s7
	s_ashr_i32 s7, s6, 31
	s_lshl_b64 s[10:11], s[6:7], 2
	s_mov_b32 s7, s0
	s_waitcnt lgkmcnt(0)
	s_add_u32 s0, s2, s10
	s_addc_u32 s1, s3, s11
	s_load_dwordx2 s[2:3], s[0:1], 0x0
	s_waitcnt lgkmcnt(0)
	s_sub_i32 s18, s2, s20
	s_sub_i32 s21, s3, s20
.LBB32_5:
	s_load_dwordx2 s[10:11], s[4:5], 0x50
	v_lshl_add_u32 v6, s7, 4, v1
	v_ashrrev_i32_e32 v7, 31, v6
	v_cmp_gt_i32_e64 s[0:1], s19, v6
	v_cmp_gt_u32_e64 s[2:3], 3, v0
	v_mov_b32_e32 v14, 0
	s_cmp_ge_i32 s18, s21
	v_mov_b32_e32 v18, 0
	s_cbranch_scc1 .LBB32_17
; %bb.6:
	s_load_dwordx4 s[12:15], s[4:5], 0x20
	s_load_dwordx2 s[30:31], s[4:5], 0x38
	v_mul_lo_u32 v14, s9, v6
	v_mul_lo_u32 v15, s8, v7
	v_mad_u64_u32 v[10:11], s[28:29], s8, v6, 0
	v_cmp_lt_u32_e32 vcc, 3, v0
	s_xor_b64 s[24:25], s[0:1], -1
	v_lshlrev_b64 v[8:9], 3, v[6:7]
	s_or_b64 s[24:25], s[24:25], vcc
	v_cmp_gt_u32_e32 vcc, 4, v1
	s_and_b64 s[26:27], s[2:3], vcc
	s_waitcnt lgkmcnt(0)
	v_mov_b32_e32 v13, s31
	v_add_co_u32_e32 v12, vcc, s30, v8
	v_add3_u32 v11, v11, v15, v14
	v_addc_co_u32_e32 v13, vcc, v13, v9, vcc
	v_lshlrev_b64 v[8:9], 3, v[10:11]
	v_mov_b32_e32 v10, s31
	v_add_co_u32_e32 v11, vcc, s30, v8
	v_addc_co_u32_e32 v9, vcc, v10, v9, vcc
	v_lshlrev_b32_e32 v10, 3, v0
	s_cmpk_lg_i32 s17, 0x6f
	v_add_co_u32_e32 v16, vcc, v11, v10
	v_lshl_add_u32 v14, v1, 2, v0
	s_cselect_b64 s[28:29], -1, 0
	v_addc_co_u32_e32 v17, vcc, 0, v9, vcc
	s_cmp_eq_u32 s16, 0
	v_sub_u32_e32 v9, v14, v1
	v_lshl_add_u32 v11, v0, 2, v1
	s_cselect_b64 vcc, -1, 0
	v_cndmask_b32_e32 v9, v9, v11, vcc
	v_add_u32_e32 v20, 0x200, v10
	s_ashr_i32 s19, s18, 31
	v_mad_u64_u32 v[10:11], s[30:31], s18, 12, v[9:10]
	s_lshl_b64 s[16:17], s[18:19], 2
	v_lshlrev_b32_e32 v15, 3, v14
	s_add_u32 s12, s12, s16
	v_mov_b32_e32 v8, 0
	v_add_u32_e32 v19, 0x200, v15
	v_lshlrev_b32_e32 v1, 5, v1
	s_addc_u32 s13, s13, s17
	v_mov_b32_e32 v14, 0
	v_mov_b32_e32 v18, 0
	s_branch .LBB32_8
.LBB32_7:                               ;   in Loop: Header=BB32_8 Depth=1
	s_or_b64 exec, exec, s[16:17]
	s_waitcnt lgkmcnt(0)
	; wave barrier
	ds_read2_b64 v[21:24], v20 offset1:4
	ds_read_b128 v[25:28], v1
	ds_read_b128 v[29:32], v1 offset:16
	ds_read2_b64 v[33:36], v20 offset0:8 offset1:12
	s_add_i32 s18, s18, 1
	s_add_u32 s12, s12, 4
	s_waitcnt lgkmcnt(2)
	v_fmac_f32_e32 v18, v21, v25
	v_fmac_f32_e32 v14, v22, v25
	v_fma_f32 v9, -v22, v26, v18
	v_fmac_f32_e32 v14, v21, v26
	v_fmac_f32_e32 v9, v23, v27
	;; [unrolled: 1-line block ×3, first 2 shown]
	v_fma_f32 v9, -v24, v28, v9
	v_fmac_f32_e32 v14, v23, v28
	s_waitcnt lgkmcnt(0)
	v_fmac_f32_e32 v9, v33, v29
	v_fmac_f32_e32 v14, v34, v29
	v_fma_f32 v9, -v34, v30, v9
	v_fmac_f32_e32 v14, v33, v30
	v_fmac_f32_e32 v9, v35, v31
	;; [unrolled: 1-line block ×3, first 2 shown]
	s_addc_u32 s13, s13, 0
	v_fma_f32 v18, -v36, v32, v9
	v_fmac_f32_e32 v14, v35, v32
	s_cmp_ge_i32 s18, s21
	v_add_u32_e32 v10, 12, v10
	; wave barrier
	s_cbranch_scc1 .LBB32_17
.LBB32_8:                               ; =>This Inner Loop Header: Depth=1
	s_and_saveexec_b64 s[16:17], s[24:25]
	s_xor_b64 s[16:17], exec, s[16:17]
; %bb.9:                                ;   in Loop: Header=BB32_8 Depth=1
	v_mov_b32_e32 v9, v8
	ds_write_b64 v15, v[8:9]
; %bb.10:                               ;   in Loop: Header=BB32_8 Depth=1
	s_andn2_saveexec_b64 s[16:17], s[16:17]
	s_cbranch_execz .LBB32_15
; %bb.11:                               ;   in Loop: Header=BB32_8 Depth=1
	s_load_dword s7, s[12:13], 0x0
	s_mov_b64 s[34:35], -1
	s_and_b64 vcc, exec, s[28:29]
	s_waitcnt lgkmcnt(0)
	s_sub_i32 s7, s7, s20
	s_lshl_b32 s30, s7, 2
	s_cbranch_vccz .LBB32_13
; %bb.12:                               ;   in Loop: Header=BB32_8 Depth=1
	v_or_b32_e32 v9, s30, v0
	v_mul_lo_u32 v11, s9, v9
	v_mad_u64_u32 v[21:22], s[34:35], s8, v9, 0
	s_ashr_i32 s7, s30, 31
	s_mul_i32 s7, s8, s7
	v_add3_u32 v22, v22, s7, v11
	v_lshlrev_b64 v[21:22], 3, v[21:22]
	s_mov_b64 s[34:35], 0
	v_add_co_u32_e32 v21, vcc, v12, v21
	v_addc_co_u32_e32 v22, vcc, v13, v22, vcc
	global_load_dwordx2 v[21:22], v[21:22], off
	s_waitcnt vmcnt(0)
	ds_write_b64 v15, v[21:22]
.LBB32_13:                              ;   in Loop: Header=BB32_8 Depth=1
	s_andn2_b64 vcc, exec, s[34:35]
	s_cbranch_vccnz .LBB32_15
; %bb.14:                               ;   in Loop: Header=BB32_8 Depth=1
	s_ashr_i32 s31, s30, 31
	s_lshl_b64 s[30:31], s[30:31], 3
	v_mov_b32_e32 v9, s31
	v_add_co_u32_e32 v21, vcc, s30, v16
	v_addc_co_u32_e32 v22, vcc, v17, v9, vcc
	global_load_dwordx2 v[21:22], v[21:22], off
	s_waitcnt vmcnt(0)
	ds_write_b64 v15, v[21:22]
.LBB32_15:                              ;   in Loop: Header=BB32_8 Depth=1
	s_or_b64 exec, exec, s[16:17]
	s_and_saveexec_b64 s[16:17], s[26:27]
	s_cbranch_execz .LBB32_7
; %bb.16:                               ;   in Loop: Header=BB32_8 Depth=1
	v_ashrrev_i32_e32 v11, 31, v10
	v_lshlrev_b64 v[21:22], 3, v[10:11]
	v_mov_b32_e32 v9, s15
	v_add_co_u32_e32 v21, vcc, s14, v21
	v_addc_co_u32_e32 v22, vcc, v9, v22, vcc
	global_load_dwordx2 v[21:22], v[21:22], off
	s_waitcnt vmcnt(0)
	ds_write_b64 v19, v[21:22]
	s_branch .LBB32_7
.LBB32_17:
	s_and_b64 s[0:1], s[22:23], s[0:1]
	s_and_b64 s[0:1], s[0:1], s[2:3]
	s_and_b64 exec, exec, s[0:1]
	s_cbranch_execz .LBB32_22
; %bb.18:
	s_load_dwordx2 s[0:1], s[4:5], 0x58
	v_cmp_neq_f32_e32 vcc, 0, v2
	s_waitcnt lgkmcnt(0)
	v_mul_lo_u32 v1, s1, v6
	v_mul_lo_u32 v10, s0, v7
	v_mad_u64_u32 v[8:9], s[0:1], s0, v6, 0
	v_mad_u64_u32 v[6:7], s[0:1], s6, 3, v[0:1]
	v_add3_u32 v9, v9, v10, v1
	v_cmp_neq_f32_e64 s[0:1], 0, v3
	v_mul_f32_e64 v0, v14, -v5
	v_mul_f32_e32 v1, v4, v14
	v_lshlrev_b64 v[8:9], 3, v[8:9]
	s_or_b64 s[0:1], vcc, s[0:1]
	v_ashrrev_i32_e32 v7, 31, v6
	v_fmac_f32_e32 v0, v4, v18
	v_fmac_f32_e32 v1, v5, v18
	s_and_saveexec_b64 s[2:3], s[0:1]
	s_xor_b64 s[0:1], exec, s[2:3]
	s_cbranch_execz .LBB32_20
; %bb.19:
	v_mov_b32_e32 v4, s11
	v_add_co_u32_e32 v8, vcc, s10, v8
	v_addc_co_u32_e32 v9, vcc, v4, v9, vcc
	v_lshlrev_b64 v[4:5], 3, v[6:7]
	v_add_co_u32_e32 v4, vcc, v8, v4
	v_addc_co_u32_e32 v5, vcc, v9, v5, vcc
	global_load_dwordx2 v[6:7], v[4:5], off
                                        ; implicit-def: $vgpr8_vgpr9
	s_waitcnt vmcnt(0)
	v_fmac_f32_e32 v0, v2, v6
	v_fmac_f32_e32 v1, v3, v6
	v_fma_f32 v0, -v3, v7, v0
	v_fmac_f32_e32 v1, v2, v7
	global_store_dwordx2 v[4:5], v[0:1], off
                                        ; implicit-def: $vgpr6_vgpr7
                                        ; implicit-def: $vgpr0
.LBB32_20:
	s_andn2_saveexec_b64 s[0:1], s[0:1]
	s_cbranch_execz .LBB32_22
; %bb.21:
	v_mov_b32_e32 v2, s11
	v_add_co_u32_e32 v4, vcc, s10, v8
	v_addc_co_u32_e32 v5, vcc, v2, v9, vcc
	v_lshlrev_b64 v[2:3], 3, v[6:7]
	v_add_co_u32_e32 v2, vcc, v4, v2
	v_addc_co_u32_e32 v3, vcc, v5, v3, vcc
	global_store_dwordx2 v[2:3], v[0:1], off
.LBB32_22:
	s_endpgm
	.section	.rodata,"a",@progbits
	.p2align	6, 0x0
	.amdhsa_kernel _ZN9rocsparseL29gebsrmm_small_blockdim_kernelILi3ELi4ELi4ELi16E21rocsparse_complex_numIfEEEv20rocsparse_direction_20rocsparse_operation_iiNS_24const_host_device_scalarIT3_EEPKiS9_PKS6_iiSB_lS7_PS6_l21rocsparse_index_base_b
		.amdhsa_group_segment_fixed_size 640
		.amdhsa_private_segment_fixed_size 0
		.amdhsa_kernarg_size 104
		.amdhsa_user_sgpr_count 6
		.amdhsa_user_sgpr_private_segment_buffer 1
		.amdhsa_user_sgpr_dispatch_ptr 0
		.amdhsa_user_sgpr_queue_ptr 0
		.amdhsa_user_sgpr_kernarg_segment_ptr 1
		.amdhsa_user_sgpr_dispatch_id 0
		.amdhsa_user_sgpr_flat_scratch_init 0
		.amdhsa_user_sgpr_private_segment_size 0
		.amdhsa_uses_dynamic_stack 0
		.amdhsa_system_sgpr_private_segment_wavefront_offset 0
		.amdhsa_system_sgpr_workgroup_id_x 1
		.amdhsa_system_sgpr_workgroup_id_y 1
		.amdhsa_system_sgpr_workgroup_id_z 0
		.amdhsa_system_sgpr_workgroup_info 0
		.amdhsa_system_vgpr_workitem_id 1
		.amdhsa_next_free_vgpr 37
		.amdhsa_next_free_sgpr 36
		.amdhsa_reserve_vcc 1
		.amdhsa_reserve_flat_scratch 0
		.amdhsa_float_round_mode_32 0
		.amdhsa_float_round_mode_16_64 0
		.amdhsa_float_denorm_mode_32 3
		.amdhsa_float_denorm_mode_16_64 3
		.amdhsa_dx10_clamp 1
		.amdhsa_ieee_mode 1
		.amdhsa_fp16_overflow 0
		.amdhsa_exception_fp_ieee_invalid_op 0
		.amdhsa_exception_fp_denorm_src 0
		.amdhsa_exception_fp_ieee_div_zero 0
		.amdhsa_exception_fp_ieee_overflow 0
		.amdhsa_exception_fp_ieee_underflow 0
		.amdhsa_exception_fp_ieee_inexact 0
		.amdhsa_exception_int_div_zero 0
	.end_amdhsa_kernel
	.section	.text._ZN9rocsparseL29gebsrmm_small_blockdim_kernelILi3ELi4ELi4ELi16E21rocsparse_complex_numIfEEEv20rocsparse_direction_20rocsparse_operation_iiNS_24const_host_device_scalarIT3_EEPKiS9_PKS6_iiSB_lS7_PS6_l21rocsparse_index_base_b,"axG",@progbits,_ZN9rocsparseL29gebsrmm_small_blockdim_kernelILi3ELi4ELi4ELi16E21rocsparse_complex_numIfEEEv20rocsparse_direction_20rocsparse_operation_iiNS_24const_host_device_scalarIT3_EEPKiS9_PKS6_iiSB_lS7_PS6_l21rocsparse_index_base_b,comdat
.Lfunc_end32:
	.size	_ZN9rocsparseL29gebsrmm_small_blockdim_kernelILi3ELi4ELi4ELi16E21rocsparse_complex_numIfEEEv20rocsparse_direction_20rocsparse_operation_iiNS_24const_host_device_scalarIT3_EEPKiS9_PKS6_iiSB_lS7_PS6_l21rocsparse_index_base_b, .Lfunc_end32-_ZN9rocsparseL29gebsrmm_small_blockdim_kernelILi3ELi4ELi4ELi16E21rocsparse_complex_numIfEEEv20rocsparse_direction_20rocsparse_operation_iiNS_24const_host_device_scalarIT3_EEPKiS9_PKS6_iiSB_lS7_PS6_l21rocsparse_index_base_b
                                        ; -- End function
	.set _ZN9rocsparseL29gebsrmm_small_blockdim_kernelILi3ELi4ELi4ELi16E21rocsparse_complex_numIfEEEv20rocsparse_direction_20rocsparse_operation_iiNS_24const_host_device_scalarIT3_EEPKiS9_PKS6_iiSB_lS7_PS6_l21rocsparse_index_base_b.num_vgpr, 37
	.set _ZN9rocsparseL29gebsrmm_small_blockdim_kernelILi3ELi4ELi4ELi16E21rocsparse_complex_numIfEEEv20rocsparse_direction_20rocsparse_operation_iiNS_24const_host_device_scalarIT3_EEPKiS9_PKS6_iiSB_lS7_PS6_l21rocsparse_index_base_b.num_agpr, 0
	.set _ZN9rocsparseL29gebsrmm_small_blockdim_kernelILi3ELi4ELi4ELi16E21rocsparse_complex_numIfEEEv20rocsparse_direction_20rocsparse_operation_iiNS_24const_host_device_scalarIT3_EEPKiS9_PKS6_iiSB_lS7_PS6_l21rocsparse_index_base_b.numbered_sgpr, 36
	.set _ZN9rocsparseL29gebsrmm_small_blockdim_kernelILi3ELi4ELi4ELi16E21rocsparse_complex_numIfEEEv20rocsparse_direction_20rocsparse_operation_iiNS_24const_host_device_scalarIT3_EEPKiS9_PKS6_iiSB_lS7_PS6_l21rocsparse_index_base_b.num_named_barrier, 0
	.set _ZN9rocsparseL29gebsrmm_small_blockdim_kernelILi3ELi4ELi4ELi16E21rocsparse_complex_numIfEEEv20rocsparse_direction_20rocsparse_operation_iiNS_24const_host_device_scalarIT3_EEPKiS9_PKS6_iiSB_lS7_PS6_l21rocsparse_index_base_b.private_seg_size, 0
	.set _ZN9rocsparseL29gebsrmm_small_blockdim_kernelILi3ELi4ELi4ELi16E21rocsparse_complex_numIfEEEv20rocsparse_direction_20rocsparse_operation_iiNS_24const_host_device_scalarIT3_EEPKiS9_PKS6_iiSB_lS7_PS6_l21rocsparse_index_base_b.uses_vcc, 1
	.set _ZN9rocsparseL29gebsrmm_small_blockdim_kernelILi3ELi4ELi4ELi16E21rocsparse_complex_numIfEEEv20rocsparse_direction_20rocsparse_operation_iiNS_24const_host_device_scalarIT3_EEPKiS9_PKS6_iiSB_lS7_PS6_l21rocsparse_index_base_b.uses_flat_scratch, 0
	.set _ZN9rocsparseL29gebsrmm_small_blockdim_kernelILi3ELi4ELi4ELi16E21rocsparse_complex_numIfEEEv20rocsparse_direction_20rocsparse_operation_iiNS_24const_host_device_scalarIT3_EEPKiS9_PKS6_iiSB_lS7_PS6_l21rocsparse_index_base_b.has_dyn_sized_stack, 0
	.set _ZN9rocsparseL29gebsrmm_small_blockdim_kernelILi3ELi4ELi4ELi16E21rocsparse_complex_numIfEEEv20rocsparse_direction_20rocsparse_operation_iiNS_24const_host_device_scalarIT3_EEPKiS9_PKS6_iiSB_lS7_PS6_l21rocsparse_index_base_b.has_recursion, 0
	.set _ZN9rocsparseL29gebsrmm_small_blockdim_kernelILi3ELi4ELi4ELi16E21rocsparse_complex_numIfEEEv20rocsparse_direction_20rocsparse_operation_iiNS_24const_host_device_scalarIT3_EEPKiS9_PKS6_iiSB_lS7_PS6_l21rocsparse_index_base_b.has_indirect_call, 0
	.section	.AMDGPU.csdata,"",@progbits
; Kernel info:
; codeLenInByte = 1172
; TotalNumSgprs: 40
; NumVgprs: 37
; ScratchSize: 0
; MemoryBound: 0
; FloatMode: 240
; IeeeMode: 1
; LDSByteSize: 640 bytes/workgroup (compile time only)
; SGPRBlocks: 4
; VGPRBlocks: 9
; NumSGPRsForWavesPerEU: 40
; NumVGPRsForWavesPerEU: 37
; Occupancy: 6
; WaveLimiterHint : 1
; COMPUTE_PGM_RSRC2:SCRATCH_EN: 0
; COMPUTE_PGM_RSRC2:USER_SGPR: 6
; COMPUTE_PGM_RSRC2:TRAP_HANDLER: 0
; COMPUTE_PGM_RSRC2:TGID_X_EN: 1
; COMPUTE_PGM_RSRC2:TGID_Y_EN: 1
; COMPUTE_PGM_RSRC2:TGID_Z_EN: 0
; COMPUTE_PGM_RSRC2:TIDIG_COMP_CNT: 1
	.section	.text._ZN9rocsparseL29gebsrmm_small_blockdim_kernelILi4ELi1ELi4ELi16E21rocsparse_complex_numIfEEEv20rocsparse_direction_20rocsparse_operation_iiNS_24const_host_device_scalarIT3_EEPKiS9_PKS6_iiSB_lS7_PS6_l21rocsparse_index_base_b,"axG",@progbits,_ZN9rocsparseL29gebsrmm_small_blockdim_kernelILi4ELi1ELi4ELi16E21rocsparse_complex_numIfEEEv20rocsparse_direction_20rocsparse_operation_iiNS_24const_host_device_scalarIT3_EEPKiS9_PKS6_iiSB_lS7_PS6_l21rocsparse_index_base_b,comdat
	.globl	_ZN9rocsparseL29gebsrmm_small_blockdim_kernelILi4ELi1ELi4ELi16E21rocsparse_complex_numIfEEEv20rocsparse_direction_20rocsparse_operation_iiNS_24const_host_device_scalarIT3_EEPKiS9_PKS6_iiSB_lS7_PS6_l21rocsparse_index_base_b ; -- Begin function _ZN9rocsparseL29gebsrmm_small_blockdim_kernelILi4ELi1ELi4ELi16E21rocsparse_complex_numIfEEEv20rocsparse_direction_20rocsparse_operation_iiNS_24const_host_device_scalarIT3_EEPKiS9_PKS6_iiSB_lS7_PS6_l21rocsparse_index_base_b
	.p2align	8
	.type	_ZN9rocsparseL29gebsrmm_small_blockdim_kernelILi4ELi1ELi4ELi16E21rocsparse_complex_numIfEEEv20rocsparse_direction_20rocsparse_operation_iiNS_24const_host_device_scalarIT3_EEPKiS9_PKS6_iiSB_lS7_PS6_l21rocsparse_index_base_b,@function
_ZN9rocsparseL29gebsrmm_small_blockdim_kernelILi4ELi1ELi4ELi16E21rocsparse_complex_numIfEEEv20rocsparse_direction_20rocsparse_operation_iiNS_24const_host_device_scalarIT3_EEPKiS9_PKS6_iiSB_lS7_PS6_l21rocsparse_index_base_b: ; @_ZN9rocsparseL29gebsrmm_small_blockdim_kernelILi4ELi1ELi4ELi16E21rocsparse_complex_numIfEEEv20rocsparse_direction_20rocsparse_operation_iiNS_24const_host_device_scalarIT3_EEPKiS9_PKS6_iiSB_lS7_PS6_l21rocsparse_index_base_b
; %bb.0:
	s_load_dwordx2 s[0:1], s[4:5], 0x10
	s_load_dwordx4 s[8:11], s[4:5], 0x40
	s_load_dwordx2 s[20:21], s[4:5], 0x60
	s_add_u32 s2, s4, 16
	s_addc_u32 s3, s5, 0
	s_add_u32 s12, s4, 0x48
	s_addc_u32 s13, s5, 0
	s_waitcnt lgkmcnt(0)
	s_bitcmp1_b32 s21, 0
	s_cselect_b32 s1, s3, s1
	s_cselect_b32 s0, s2, s0
	v_mov_b32_e32 v2, s0
	v_mov_b32_e32 v3, s1
	flat_load_dwordx2 v[4:5], v[2:3]
	s_cselect_b32 s0, s13, s11
	s_cselect_b32 s1, s12, s10
	v_mov_b32_e32 v2, s1
	v_mov_b32_e32 v3, s0
	flat_load_dwordx2 v[2:3], v[2:3]
	s_waitcnt vmcnt(0) lgkmcnt(0)
	v_cmp_eq_f32_e32 vcc, 0, v4
	v_cmp_eq_f32_e64 s[0:1], 0, v5
	s_and_b64 s[10:11], vcc, s[0:1]
	s_mov_b64 s[0:1], -1
	s_and_saveexec_b64 s[2:3], s[10:11]
; %bb.1:
	v_cmp_neq_f32_e32 vcc, 1.0, v2
	v_cmp_neq_f32_e64 s[0:1], 0, v3
	s_or_b64 s[0:1], vcc, s[0:1]
	s_orn2_b64 s[0:1], s[0:1], exec
; %bb.2:
	s_or_b64 exec, exec, s[2:3]
	s_and_saveexec_b64 s[2:3], s[0:1]
	s_cbranch_execz .LBB33_22
; %bb.3:
	s_load_dwordx4 s[16:19], s[4:5], 0x4
	s_mov_b32 s21, 0
	s_mov_b32 s24, 0
	s_waitcnt lgkmcnt(0)
	s_cmp_lt_i32 s6, s17
	s_cselect_b64 s[22:23], -1, 0
	s_cmp_ge_i32 s6, s17
	s_cbranch_scc1 .LBB33_5
; %bb.4:
	s_load_dwordx2 s[2:3], s[4:5], 0x18
	s_mov_b32 s0, s7
	s_ashr_i32 s7, s6, 31
	s_lshl_b64 s[10:11], s[6:7], 2
	s_mov_b32 s7, s0
	s_waitcnt lgkmcnt(0)
	s_add_u32 s0, s2, s10
	s_addc_u32 s1, s3, s11
	s_load_dwordx2 s[2:3], s[0:1], 0x0
	s_waitcnt lgkmcnt(0)
	s_sub_i32 s24, s2, s20
	s_sub_i32 s21, s3, s20
.LBB33_5:
	s_load_dwordx2 s[10:11], s[4:5], 0x50
	v_lshl_add_u32 v6, s7, 4, v1
	v_ashrrev_i32_e32 v7, 31, v6
	v_cmp_gt_i32_e64 s[0:1], s18, v6
	v_cmp_gt_u32_e64 s[2:3], 4, v0
	v_mov_b32_e32 v12, 0
	s_cmp_ge_i32 s24, s21
	v_mov_b32_e32 v13, 0
	s_cbranch_scc1 .LBB33_17
; %bb.6:
	s_load_dwordx4 s[12:15], s[4:5], 0x20
	s_load_dwordx2 s[28:29], s[4:5], 0x38
	v_mul_lo_u32 v13, s9, v6
	v_mul_lo_u32 v16, s8, v7
	v_mad_u64_u32 v[10:11], s[30:31], s8, v6, 0
	v_cmp_ne_u32_e32 vcc, 0, v0
	s_xor_b64 s[18:19], s[0:1], -1
	v_lshlrev_b64 v[8:9], 3, v[6:7]
	s_or_b64 s[18:19], vcc, s[18:19]
	v_cmp_eq_u32_e32 vcc, 0, v1
	s_and_b64 s[26:27], s[2:3], vcc
	s_waitcnt lgkmcnt(0)
	v_mov_b32_e32 v12, s29
	v_add_co_u32_e32 v14, vcc, s28, v8
	v_add3_u32 v11, v11, v16, v13
	v_lshlrev_b32_e32 v8, 2, v1
	v_addc_co_u32_e32 v15, vcc, v12, v9, vcc
	v_add_lshl_u32 v16, v8, v0, 3
	s_cmpk_lg_i32 s16, 0x6f
	v_lshlrev_b64 v[8:9], 3, v[10:11]
	s_cselect_b64 s[16:17], -1, 0
	s_ashr_i32 s25, s24, 31
	v_mov_b32_e32 v10, s29
	v_add_co_u32_e32 v17, vcc, s28, v8
	s_lshl_b64 s[28:29], s[24:25], 2
	v_mov_b32_e32 v8, 0x200
	s_add_u32 s12, s12, s28
	v_addc_co_u32_e32 v18, vcc, v10, v9, vcc
	v_add_u32_e32 v19, 0x200, v16
	v_lshl_or_b32 v20, v0, 3, v8
	v_lshlrev_b32_e32 v1, 5, v1
	s_addc_u32 s13, s13, s29
	v_lshl_add_u32 v8, s24, 2, v0
	v_mov_b32_e32 v10, 0
	v_mov_b32_e32 v12, 0
	;; [unrolled: 1-line block ×3, first 2 shown]
	s_branch .LBB33_8
.LBB33_7:                               ;   in Loop: Header=BB33_8 Depth=1
	s_or_b64 exec, exec, s[28:29]
	s_waitcnt lgkmcnt(0)
	; wave barrier
	ds_read_b64 v[21:22], v20
	ds_read_b64 v[23:24], v1
	s_add_i32 s24, s24, 1
	s_add_u32 s12, s12, 4
	s_addc_u32 s13, s13, 0
	s_cmp_ge_i32 s24, s21
	s_waitcnt lgkmcnt(0)
	v_fmac_f32_e32 v13, v21, v23
	v_fmac_f32_e32 v12, v22, v23
	v_fma_f32 v13, -v22, v24, v13
	v_fmac_f32_e32 v12, v21, v24
	v_add_u32_e32 v8, 4, v8
	; wave barrier
	s_cbranch_scc1 .LBB33_17
.LBB33_8:                               ; =>This Inner Loop Header: Depth=1
	s_and_saveexec_b64 s[28:29], s[18:19]
	s_xor_b64 s[28:29], exec, s[28:29]
; %bb.9:                                ;   in Loop: Header=BB33_8 Depth=1
	v_mov_b32_e32 v11, v10
	ds_write_b64 v16, v[10:11]
; %bb.10:                               ;   in Loop: Header=BB33_8 Depth=1
	s_andn2_saveexec_b64 s[28:29], s[28:29]
	s_cbranch_execz .LBB33_15
; %bb.11:                               ;   in Loop: Header=BB33_8 Depth=1
	s_load_dword s7, s[12:13], 0x0
	s_mov_b64 s[34:35], -1
	s_and_b64 vcc, exec, s[16:17]
	s_waitcnt lgkmcnt(0)
	s_sub_i32 s30, s7, s20
	s_ashr_i32 s31, s30, 31
	s_cbranch_vccz .LBB33_13
; %bb.12:                               ;   in Loop: Header=BB33_8 Depth=1
	s_mul_i32 s7, s8, s31
	s_mul_hi_u32 s25, s8, s30
	s_add_i32 s7, s25, s7
	s_mul_i32 s25, s9, s30
	s_add_i32 s35, s7, s25
	s_mul_i32 s34, s8, s30
	s_lshl_b64 s[34:35], s[34:35], 3
	v_mov_b32_e32 v9, s35
	v_add_co_u32_e32 v21, vcc, s34, v14
	v_addc_co_u32_e32 v22, vcc, v15, v9, vcc
	global_load_dwordx2 v[21:22], v[21:22], off
	s_mov_b64 s[34:35], 0
	s_waitcnt vmcnt(0)
	ds_write_b64 v16, v[21:22]
.LBB33_13:                              ;   in Loop: Header=BB33_8 Depth=1
	s_andn2_b64 vcc, exec, s[34:35]
	s_cbranch_vccnz .LBB33_15
; %bb.14:                               ;   in Loop: Header=BB33_8 Depth=1
	s_lshl_b64 s[30:31], s[30:31], 3
	v_mov_b32_e32 v9, s31
	v_add_co_u32_e32 v21, vcc, s30, v17
	v_addc_co_u32_e32 v22, vcc, v18, v9, vcc
	global_load_dwordx2 v[21:22], v[21:22], off
	s_waitcnt vmcnt(0)
	ds_write_b64 v16, v[21:22]
.LBB33_15:                              ;   in Loop: Header=BB33_8 Depth=1
	s_or_b64 exec, exec, s[28:29]
	s_and_saveexec_b64 s[28:29], s[26:27]
	s_cbranch_execz .LBB33_7
; %bb.16:                               ;   in Loop: Header=BB33_8 Depth=1
	v_ashrrev_i32_e32 v9, 31, v8
	v_lshlrev_b64 v[21:22], 3, v[8:9]
	v_mov_b32_e32 v9, s15
	v_add_co_u32_e32 v21, vcc, s14, v21
	v_addc_co_u32_e32 v22, vcc, v9, v22, vcc
	global_load_dwordx2 v[21:22], v[21:22], off
	s_waitcnt vmcnt(0)
	ds_write_b64 v19, v[21:22]
	s_branch .LBB33_7
.LBB33_17:
	s_and_b64 s[0:1], s[22:23], s[0:1]
	s_and_b64 s[0:1], s[0:1], s[2:3]
	s_and_b64 exec, exec, s[0:1]
	s_cbranch_execz .LBB33_22
; %bb.18:
	s_load_dwordx2 s[0:1], s[4:5], 0x58
	v_lshl_add_u32 v8, s6, 2, v0
	v_cmp_neq_f32_e32 vcc, 0, v2
	v_ashrrev_i32_e32 v9, 31, v8
	s_waitcnt lgkmcnt(0)
	v_mul_lo_u32 v0, s1, v6
	v_mul_lo_u32 v1, s0, v7
	v_mad_u64_u32 v[6:7], s[0:1], s0, v6, 0
	v_cmp_neq_f32_e64 s[0:1], 0, v3
	s_or_b64 s[0:1], vcc, s[0:1]
	v_add3_u32 v7, v7, v1, v0
	v_mul_f32_e64 v0, v12, -v5
	v_mul_f32_e32 v1, v4, v12
	v_lshlrev_b64 v[6:7], 3, v[6:7]
	v_fmac_f32_e32 v0, v4, v13
	v_fmac_f32_e32 v1, v5, v13
	s_and_saveexec_b64 s[2:3], s[0:1]
	s_xor_b64 s[0:1], exec, s[2:3]
	s_cbranch_execz .LBB33_20
; %bb.19:
	v_mov_b32_e32 v4, s11
	v_add_co_u32_e32 v6, vcc, s10, v6
	v_addc_co_u32_e32 v7, vcc, v4, v7, vcc
	v_lshlrev_b64 v[4:5], 3, v[8:9]
                                        ; implicit-def: $vgpr8
	v_add_co_u32_e32 v4, vcc, v6, v4
	v_addc_co_u32_e32 v5, vcc, v7, v5, vcc
	global_load_dwordx2 v[6:7], v[4:5], off
	s_waitcnt vmcnt(0)
	v_fmac_f32_e32 v0, v2, v6
	v_fmac_f32_e32 v1, v3, v6
	v_fma_f32 v0, -v3, v7, v0
	v_fmac_f32_e32 v1, v2, v7
	global_store_dwordx2 v[4:5], v[0:1], off
                                        ; implicit-def: $vgpr6_vgpr7
                                        ; implicit-def: $vgpr0
.LBB33_20:
	s_andn2_saveexec_b64 s[0:1], s[0:1]
	s_cbranch_execz .LBB33_22
; %bb.21:
	v_mov_b32_e32 v2, s11
	v_add_co_u32_e32 v4, vcc, s10, v6
	v_addc_co_u32_e32 v5, vcc, v2, v7, vcc
	v_lshlrev_b64 v[2:3], 3, v[8:9]
	v_add_co_u32_e32 v2, vcc, v4, v2
	v_addc_co_u32_e32 v3, vcc, v5, v3, vcc
	global_store_dwordx2 v[2:3], v[0:1], off
.LBB33_22:
	s_endpgm
	.section	.rodata,"a",@progbits
	.p2align	6, 0x0
	.amdhsa_kernel _ZN9rocsparseL29gebsrmm_small_blockdim_kernelILi4ELi1ELi4ELi16E21rocsparse_complex_numIfEEEv20rocsparse_direction_20rocsparse_operation_iiNS_24const_host_device_scalarIT3_EEPKiS9_PKS6_iiSB_lS7_PS6_l21rocsparse_index_base_b
		.amdhsa_group_segment_fixed_size 640
		.amdhsa_private_segment_fixed_size 0
		.amdhsa_kernarg_size 104
		.amdhsa_user_sgpr_count 6
		.amdhsa_user_sgpr_private_segment_buffer 1
		.amdhsa_user_sgpr_dispatch_ptr 0
		.amdhsa_user_sgpr_queue_ptr 0
		.amdhsa_user_sgpr_kernarg_segment_ptr 1
		.amdhsa_user_sgpr_dispatch_id 0
		.amdhsa_user_sgpr_flat_scratch_init 0
		.amdhsa_user_sgpr_private_segment_size 0
		.amdhsa_uses_dynamic_stack 0
		.amdhsa_system_sgpr_private_segment_wavefront_offset 0
		.amdhsa_system_sgpr_workgroup_id_x 1
		.amdhsa_system_sgpr_workgroup_id_y 1
		.amdhsa_system_sgpr_workgroup_id_z 0
		.amdhsa_system_sgpr_workgroup_info 0
		.amdhsa_system_vgpr_workitem_id 1
		.amdhsa_next_free_vgpr 25
		.amdhsa_next_free_sgpr 36
		.amdhsa_reserve_vcc 1
		.amdhsa_reserve_flat_scratch 0
		.amdhsa_float_round_mode_32 0
		.amdhsa_float_round_mode_16_64 0
		.amdhsa_float_denorm_mode_32 3
		.amdhsa_float_denorm_mode_16_64 3
		.amdhsa_dx10_clamp 1
		.amdhsa_ieee_mode 1
		.amdhsa_fp16_overflow 0
		.amdhsa_exception_fp_ieee_invalid_op 0
		.amdhsa_exception_fp_denorm_src 0
		.amdhsa_exception_fp_ieee_div_zero 0
		.amdhsa_exception_fp_ieee_overflow 0
		.amdhsa_exception_fp_ieee_underflow 0
		.amdhsa_exception_fp_ieee_inexact 0
		.amdhsa_exception_int_div_zero 0
	.end_amdhsa_kernel
	.section	.text._ZN9rocsparseL29gebsrmm_small_blockdim_kernelILi4ELi1ELi4ELi16E21rocsparse_complex_numIfEEEv20rocsparse_direction_20rocsparse_operation_iiNS_24const_host_device_scalarIT3_EEPKiS9_PKS6_iiSB_lS7_PS6_l21rocsparse_index_base_b,"axG",@progbits,_ZN9rocsparseL29gebsrmm_small_blockdim_kernelILi4ELi1ELi4ELi16E21rocsparse_complex_numIfEEEv20rocsparse_direction_20rocsparse_operation_iiNS_24const_host_device_scalarIT3_EEPKiS9_PKS6_iiSB_lS7_PS6_l21rocsparse_index_base_b,comdat
.Lfunc_end33:
	.size	_ZN9rocsparseL29gebsrmm_small_blockdim_kernelILi4ELi1ELi4ELi16E21rocsparse_complex_numIfEEEv20rocsparse_direction_20rocsparse_operation_iiNS_24const_host_device_scalarIT3_EEPKiS9_PKS6_iiSB_lS7_PS6_l21rocsparse_index_base_b, .Lfunc_end33-_ZN9rocsparseL29gebsrmm_small_blockdim_kernelILi4ELi1ELi4ELi16E21rocsparse_complex_numIfEEEv20rocsparse_direction_20rocsparse_operation_iiNS_24const_host_device_scalarIT3_EEPKiS9_PKS6_iiSB_lS7_PS6_l21rocsparse_index_base_b
                                        ; -- End function
	.set _ZN9rocsparseL29gebsrmm_small_blockdim_kernelILi4ELi1ELi4ELi16E21rocsparse_complex_numIfEEEv20rocsparse_direction_20rocsparse_operation_iiNS_24const_host_device_scalarIT3_EEPKiS9_PKS6_iiSB_lS7_PS6_l21rocsparse_index_base_b.num_vgpr, 25
	.set _ZN9rocsparseL29gebsrmm_small_blockdim_kernelILi4ELi1ELi4ELi16E21rocsparse_complex_numIfEEEv20rocsparse_direction_20rocsparse_operation_iiNS_24const_host_device_scalarIT3_EEPKiS9_PKS6_iiSB_lS7_PS6_l21rocsparse_index_base_b.num_agpr, 0
	.set _ZN9rocsparseL29gebsrmm_small_blockdim_kernelILi4ELi1ELi4ELi16E21rocsparse_complex_numIfEEEv20rocsparse_direction_20rocsparse_operation_iiNS_24const_host_device_scalarIT3_EEPKiS9_PKS6_iiSB_lS7_PS6_l21rocsparse_index_base_b.numbered_sgpr, 36
	.set _ZN9rocsparseL29gebsrmm_small_blockdim_kernelILi4ELi1ELi4ELi16E21rocsparse_complex_numIfEEEv20rocsparse_direction_20rocsparse_operation_iiNS_24const_host_device_scalarIT3_EEPKiS9_PKS6_iiSB_lS7_PS6_l21rocsparse_index_base_b.num_named_barrier, 0
	.set _ZN9rocsparseL29gebsrmm_small_blockdim_kernelILi4ELi1ELi4ELi16E21rocsparse_complex_numIfEEEv20rocsparse_direction_20rocsparse_operation_iiNS_24const_host_device_scalarIT3_EEPKiS9_PKS6_iiSB_lS7_PS6_l21rocsparse_index_base_b.private_seg_size, 0
	.set _ZN9rocsparseL29gebsrmm_small_blockdim_kernelILi4ELi1ELi4ELi16E21rocsparse_complex_numIfEEEv20rocsparse_direction_20rocsparse_operation_iiNS_24const_host_device_scalarIT3_EEPKiS9_PKS6_iiSB_lS7_PS6_l21rocsparse_index_base_b.uses_vcc, 1
	.set _ZN9rocsparseL29gebsrmm_small_blockdim_kernelILi4ELi1ELi4ELi16E21rocsparse_complex_numIfEEEv20rocsparse_direction_20rocsparse_operation_iiNS_24const_host_device_scalarIT3_EEPKiS9_PKS6_iiSB_lS7_PS6_l21rocsparse_index_base_b.uses_flat_scratch, 0
	.set _ZN9rocsparseL29gebsrmm_small_blockdim_kernelILi4ELi1ELi4ELi16E21rocsparse_complex_numIfEEEv20rocsparse_direction_20rocsparse_operation_iiNS_24const_host_device_scalarIT3_EEPKiS9_PKS6_iiSB_lS7_PS6_l21rocsparse_index_base_b.has_dyn_sized_stack, 0
	.set _ZN9rocsparseL29gebsrmm_small_blockdim_kernelILi4ELi1ELi4ELi16E21rocsparse_complex_numIfEEEv20rocsparse_direction_20rocsparse_operation_iiNS_24const_host_device_scalarIT3_EEPKiS9_PKS6_iiSB_lS7_PS6_l21rocsparse_index_base_b.has_recursion, 0
	.set _ZN9rocsparseL29gebsrmm_small_blockdim_kernelILi4ELi1ELi4ELi16E21rocsparse_complex_numIfEEEv20rocsparse_direction_20rocsparse_operation_iiNS_24const_host_device_scalarIT3_EEPKiS9_PKS6_iiSB_lS7_PS6_l21rocsparse_index_base_b.has_indirect_call, 0
	.section	.AMDGPU.csdata,"",@progbits
; Kernel info:
; codeLenInByte = 1048
; TotalNumSgprs: 40
; NumVgprs: 25
; ScratchSize: 0
; MemoryBound: 0
; FloatMode: 240
; IeeeMode: 1
; LDSByteSize: 640 bytes/workgroup (compile time only)
; SGPRBlocks: 4
; VGPRBlocks: 6
; NumSGPRsForWavesPerEU: 40
; NumVGPRsForWavesPerEU: 25
; Occupancy: 9
; WaveLimiterHint : 1
; COMPUTE_PGM_RSRC2:SCRATCH_EN: 0
; COMPUTE_PGM_RSRC2:USER_SGPR: 6
; COMPUTE_PGM_RSRC2:TRAP_HANDLER: 0
; COMPUTE_PGM_RSRC2:TGID_X_EN: 1
; COMPUTE_PGM_RSRC2:TGID_Y_EN: 1
; COMPUTE_PGM_RSRC2:TGID_Z_EN: 0
; COMPUTE_PGM_RSRC2:TIDIG_COMP_CNT: 1
	.section	.text._ZN9rocsparseL29gebsrmm_small_blockdim_kernelILi4ELi2ELi4ELi16E21rocsparse_complex_numIfEEEv20rocsparse_direction_20rocsparse_operation_iiNS_24const_host_device_scalarIT3_EEPKiS9_PKS6_iiSB_lS7_PS6_l21rocsparse_index_base_b,"axG",@progbits,_ZN9rocsparseL29gebsrmm_small_blockdim_kernelILi4ELi2ELi4ELi16E21rocsparse_complex_numIfEEEv20rocsparse_direction_20rocsparse_operation_iiNS_24const_host_device_scalarIT3_EEPKiS9_PKS6_iiSB_lS7_PS6_l21rocsparse_index_base_b,comdat
	.globl	_ZN9rocsparseL29gebsrmm_small_blockdim_kernelILi4ELi2ELi4ELi16E21rocsparse_complex_numIfEEEv20rocsparse_direction_20rocsparse_operation_iiNS_24const_host_device_scalarIT3_EEPKiS9_PKS6_iiSB_lS7_PS6_l21rocsparse_index_base_b ; -- Begin function _ZN9rocsparseL29gebsrmm_small_blockdim_kernelILi4ELi2ELi4ELi16E21rocsparse_complex_numIfEEEv20rocsparse_direction_20rocsparse_operation_iiNS_24const_host_device_scalarIT3_EEPKiS9_PKS6_iiSB_lS7_PS6_l21rocsparse_index_base_b
	.p2align	8
	.type	_ZN9rocsparseL29gebsrmm_small_blockdim_kernelILi4ELi2ELi4ELi16E21rocsparse_complex_numIfEEEv20rocsparse_direction_20rocsparse_operation_iiNS_24const_host_device_scalarIT3_EEPKiS9_PKS6_iiSB_lS7_PS6_l21rocsparse_index_base_b,@function
_ZN9rocsparseL29gebsrmm_small_blockdim_kernelILi4ELi2ELi4ELi16E21rocsparse_complex_numIfEEEv20rocsparse_direction_20rocsparse_operation_iiNS_24const_host_device_scalarIT3_EEPKiS9_PKS6_iiSB_lS7_PS6_l21rocsparse_index_base_b: ; @_ZN9rocsparseL29gebsrmm_small_blockdim_kernelILi4ELi2ELi4ELi16E21rocsparse_complex_numIfEEEv20rocsparse_direction_20rocsparse_operation_iiNS_24const_host_device_scalarIT3_EEPKiS9_PKS6_iiSB_lS7_PS6_l21rocsparse_index_base_b
; %bb.0:
	s_load_dwordx2 s[0:1], s[4:5], 0x10
	s_load_dwordx4 s[8:11], s[4:5], 0x40
	s_load_dwordx2 s[20:21], s[4:5], 0x60
	s_add_u32 s2, s4, 16
	s_addc_u32 s3, s5, 0
	s_add_u32 s12, s4, 0x48
	s_addc_u32 s13, s5, 0
	s_waitcnt lgkmcnt(0)
	s_bitcmp1_b32 s21, 0
	s_cselect_b32 s1, s3, s1
	s_cselect_b32 s0, s2, s0
	v_mov_b32_e32 v2, s0
	v_mov_b32_e32 v3, s1
	flat_load_dwordx2 v[4:5], v[2:3]
	s_cselect_b32 s0, s13, s11
	s_cselect_b32 s1, s12, s10
	v_mov_b32_e32 v2, s1
	v_mov_b32_e32 v3, s0
	flat_load_dwordx2 v[2:3], v[2:3]
	s_waitcnt vmcnt(0) lgkmcnt(0)
	v_cmp_eq_f32_e32 vcc, 0, v4
	v_cmp_eq_f32_e64 s[0:1], 0, v5
	s_and_b64 s[10:11], vcc, s[0:1]
	s_mov_b64 s[0:1], -1
	s_and_saveexec_b64 s[2:3], s[10:11]
; %bb.1:
	v_cmp_neq_f32_e32 vcc, 1.0, v2
	v_cmp_neq_f32_e64 s[0:1], 0, v3
	s_or_b64 s[0:1], vcc, s[0:1]
	s_orn2_b64 s[0:1], s[0:1], exec
; %bb.2:
	s_or_b64 exec, exec, s[2:3]
	s_and_saveexec_b64 s[2:3], s[0:1]
	s_cbranch_execz .LBB34_22
; %bb.3:
	s_load_dwordx4 s[16:19], s[4:5], 0x0
	s_mov_b32 s21, 0
	s_waitcnt lgkmcnt(0)
	s_cmp_lt_i32 s6, s18
	s_cselect_b64 s[22:23], -1, 0
	s_cmp_ge_i32 s6, s18
	s_mov_b32 s18, 0
	s_cbranch_scc1 .LBB34_5
; %bb.4:
	s_load_dwordx2 s[2:3], s[4:5], 0x18
	s_mov_b32 s0, s7
	s_ashr_i32 s7, s6, 31
	s_lshl_b64 s[10:11], s[6:7], 2
	s_mov_b32 s7, s0
	s_waitcnt lgkmcnt(0)
	s_add_u32 s0, s2, s10
	s_addc_u32 s1, s3, s11
	s_load_dwordx2 s[2:3], s[0:1], 0x0
	s_waitcnt lgkmcnt(0)
	s_sub_i32 s18, s2, s20
	s_sub_i32 s21, s3, s20
.LBB34_5:
	s_load_dwordx2 s[10:11], s[4:5], 0x50
	v_lshl_add_u32 v6, s7, 4, v1
	v_ashrrev_i32_e32 v7, 31, v6
	v_cmp_gt_i32_e64 s[0:1], s19, v6
	v_cmp_gt_u32_e64 s[2:3], 4, v0
	v_mov_b32_e32 v13, 0
	s_cmp_ge_i32 s18, s21
	v_mov_b32_e32 v15, 0
	s_cbranch_scc1 .LBB34_17
; %bb.6:
	s_load_dwordx4 s[12:15], s[4:5], 0x20
	s_load_dwordx2 s[30:31], s[4:5], 0x38
	v_mul_lo_u32 v15, s9, v6
	v_mul_lo_u32 v16, s8, v7
	v_mad_u64_u32 v[10:11], s[28:29], s8, v6, 0
	v_cmp_lt_u32_e32 vcc, 1, v0
	s_xor_b64 s[24:25], s[0:1], -1
	v_lshlrev_b64 v[8:9], 3, v[6:7]
	s_or_b64 s[24:25], s[24:25], vcc
	v_cmp_gt_u32_e32 vcc, 2, v1
	s_and_b64 s[26:27], s[2:3], vcc
	s_waitcnt lgkmcnt(0)
	v_mov_b32_e32 v13, s31
	v_add_co_u32_e32 v12, vcc, s30, v8
	v_add3_u32 v11, v11, v16, v15
	v_addc_co_u32_e32 v14, vcc, v13, v9, vcc
	v_lshlrev_b64 v[8:9], 3, v[10:11]
	v_mov_b32_e32 v10, s31
	v_add_co_u32_e32 v11, vcc, s30, v8
	v_addc_co_u32_e32 v9, vcc, v10, v9, vcc
	v_lshlrev_b32_e32 v10, 3, v0
	s_cmpk_lg_i32 s17, 0x6f
	v_add_co_u32_e32 v17, vcc, v11, v10
	s_cselect_b64 s[28:29], -1, 0
	v_addc_co_u32_e32 v18, vcc, 0, v9, vcc
	s_cmp_eq_u32 s16, 0
	s_cselect_b64 vcc, -1, 0
	s_ashr_i32 s19, s18, 31
	v_lshl_add_u32 v13, v1, 2, v0
	v_lshl_add_u32 v9, v0, 1, v1
	s_lshl_b64 s[16:17], s[18:19], 2
	v_lshlrev_b32_e32 v16, 3, v13
	v_cndmask_b32_e32 v9, v13, v9, vcc
	s_add_u32 s12, s12, s16
	v_mov_b32_e32 v8, 0
	v_add_u32_e32 v19, 0x200, v16
	v_add_u32_e32 v20, 0x200, v10
	v_lshlrev_b32_e32 v1, 5, v1
	s_addc_u32 s13, s13, s17
	v_lshl_add_u32 v10, s18, 3, v9
	v_mov_b32_e32 v13, 0
	v_mov_b32_e32 v15, 0
	s_branch .LBB34_8
.LBB34_7:                               ;   in Loop: Header=BB34_8 Depth=1
	s_or_b64 exec, exec, s[16:17]
	s_waitcnt lgkmcnt(0)
	; wave barrier
	ds_read2_b64 v[21:24], v20 offset1:4
	ds_read_b128 v[25:28], v1
	s_add_i32 s18, s18, 1
	s_add_u32 s12, s12, 4
	s_addc_u32 s13, s13, 0
	s_cmp_ge_i32 s18, s21
	s_waitcnt lgkmcnt(0)
	v_fmac_f32_e32 v15, v21, v25
	v_fmac_f32_e32 v13, v22, v25
	v_fma_f32 v9, -v22, v26, v15
	v_fmac_f32_e32 v13, v21, v26
	v_fmac_f32_e32 v9, v23, v27
	;; [unrolled: 1-line block ×3, first 2 shown]
	v_fma_f32 v15, -v24, v28, v9
	v_fmac_f32_e32 v13, v23, v28
	v_add_u32_e32 v10, 8, v10
	; wave barrier
	s_cbranch_scc1 .LBB34_17
.LBB34_8:                               ; =>This Inner Loop Header: Depth=1
	s_and_saveexec_b64 s[16:17], s[24:25]
	s_xor_b64 s[16:17], exec, s[16:17]
; %bb.9:                                ;   in Loop: Header=BB34_8 Depth=1
	v_mov_b32_e32 v9, v8
	ds_write_b64 v16, v[8:9]
; %bb.10:                               ;   in Loop: Header=BB34_8 Depth=1
	s_andn2_saveexec_b64 s[16:17], s[16:17]
	s_cbranch_execz .LBB34_15
; %bb.11:                               ;   in Loop: Header=BB34_8 Depth=1
	s_load_dword s7, s[12:13], 0x0
	s_mov_b64 s[34:35], -1
	s_and_b64 vcc, exec, s[28:29]
	s_waitcnt lgkmcnt(0)
	s_sub_i32 s7, s7, s20
	s_lshl_b32 s30, s7, 1
	s_cbranch_vccz .LBB34_13
; %bb.12:                               ;   in Loop: Header=BB34_8 Depth=1
	v_or_b32_e32 v9, s30, v0
	v_mul_lo_u32 v11, s9, v9
	v_mad_u64_u32 v[21:22], s[34:35], s8, v9, 0
	s_ashr_i32 s7, s30, 31
	s_mul_i32 s7, s8, s7
	v_add3_u32 v22, v22, s7, v11
	v_lshlrev_b64 v[21:22], 3, v[21:22]
	s_mov_b64 s[34:35], 0
	v_add_co_u32_e32 v21, vcc, v12, v21
	v_addc_co_u32_e32 v22, vcc, v14, v22, vcc
	global_load_dwordx2 v[21:22], v[21:22], off
	s_waitcnt vmcnt(0)
	ds_write_b64 v16, v[21:22]
.LBB34_13:                              ;   in Loop: Header=BB34_8 Depth=1
	s_andn2_b64 vcc, exec, s[34:35]
	s_cbranch_vccnz .LBB34_15
; %bb.14:                               ;   in Loop: Header=BB34_8 Depth=1
	s_ashr_i32 s31, s30, 31
	s_lshl_b64 s[30:31], s[30:31], 3
	v_mov_b32_e32 v9, s31
	v_add_co_u32_e32 v21, vcc, s30, v17
	v_addc_co_u32_e32 v22, vcc, v18, v9, vcc
	global_load_dwordx2 v[21:22], v[21:22], off
	s_waitcnt vmcnt(0)
	ds_write_b64 v16, v[21:22]
.LBB34_15:                              ;   in Loop: Header=BB34_8 Depth=1
	s_or_b64 exec, exec, s[16:17]
	s_and_saveexec_b64 s[16:17], s[26:27]
	s_cbranch_execz .LBB34_7
; %bb.16:                               ;   in Loop: Header=BB34_8 Depth=1
	v_ashrrev_i32_e32 v11, 31, v10
	v_lshlrev_b64 v[21:22], 3, v[10:11]
	v_mov_b32_e32 v9, s15
	v_add_co_u32_e32 v21, vcc, s14, v21
	v_addc_co_u32_e32 v22, vcc, v9, v22, vcc
	global_load_dwordx2 v[21:22], v[21:22], off
	s_waitcnt vmcnt(0)
	ds_write_b64 v19, v[21:22]
	s_branch .LBB34_7
.LBB34_17:
	s_and_b64 s[0:1], s[22:23], s[0:1]
	s_and_b64 s[0:1], s[0:1], s[2:3]
	s_and_b64 exec, exec, s[0:1]
	s_cbranch_execz .LBB34_22
; %bb.18:
	s_load_dwordx2 s[0:1], s[4:5], 0x58
	v_lshl_add_u32 v8, s6, 2, v0
	v_cmp_neq_f32_e32 vcc, 0, v2
	v_ashrrev_i32_e32 v9, 31, v8
	s_waitcnt lgkmcnt(0)
	v_mul_lo_u32 v0, s1, v6
	v_mul_lo_u32 v1, s0, v7
	v_mad_u64_u32 v[6:7], s[0:1], s0, v6, 0
	v_cmp_neq_f32_e64 s[0:1], 0, v3
	s_or_b64 s[0:1], vcc, s[0:1]
	v_add3_u32 v7, v7, v1, v0
	v_mul_f32_e64 v0, v13, -v5
	v_mul_f32_e32 v1, v4, v13
	v_lshlrev_b64 v[6:7], 3, v[6:7]
	v_fmac_f32_e32 v0, v4, v15
	v_fmac_f32_e32 v1, v5, v15
	s_and_saveexec_b64 s[2:3], s[0:1]
	s_xor_b64 s[0:1], exec, s[2:3]
	s_cbranch_execz .LBB34_20
; %bb.19:
	v_mov_b32_e32 v4, s11
	v_add_co_u32_e32 v6, vcc, s10, v6
	v_addc_co_u32_e32 v7, vcc, v4, v7, vcc
	v_lshlrev_b64 v[4:5], 3, v[8:9]
                                        ; implicit-def: $vgpr8
	v_add_co_u32_e32 v4, vcc, v6, v4
	v_addc_co_u32_e32 v5, vcc, v7, v5, vcc
	global_load_dwordx2 v[6:7], v[4:5], off
	s_waitcnt vmcnt(0)
	v_fmac_f32_e32 v0, v2, v6
	v_fmac_f32_e32 v1, v3, v6
	v_fma_f32 v0, -v3, v7, v0
	v_fmac_f32_e32 v1, v2, v7
	global_store_dwordx2 v[4:5], v[0:1], off
                                        ; implicit-def: $vgpr6_vgpr7
                                        ; implicit-def: $vgpr0
.LBB34_20:
	s_andn2_saveexec_b64 s[0:1], s[0:1]
	s_cbranch_execz .LBB34_22
; %bb.21:
	v_mov_b32_e32 v2, s11
	v_add_co_u32_e32 v4, vcc, s10, v6
	v_addc_co_u32_e32 v5, vcc, v2, v7, vcc
	v_lshlrev_b64 v[2:3], 3, v[8:9]
	v_add_co_u32_e32 v2, vcc, v4, v2
	v_addc_co_u32_e32 v3, vcc, v5, v3, vcc
	global_store_dwordx2 v[2:3], v[0:1], off
.LBB34_22:
	s_endpgm
	.section	.rodata,"a",@progbits
	.p2align	6, 0x0
	.amdhsa_kernel _ZN9rocsparseL29gebsrmm_small_blockdim_kernelILi4ELi2ELi4ELi16E21rocsparse_complex_numIfEEEv20rocsparse_direction_20rocsparse_operation_iiNS_24const_host_device_scalarIT3_EEPKiS9_PKS6_iiSB_lS7_PS6_l21rocsparse_index_base_b
		.amdhsa_group_segment_fixed_size 640
		.amdhsa_private_segment_fixed_size 0
		.amdhsa_kernarg_size 104
		.amdhsa_user_sgpr_count 6
		.amdhsa_user_sgpr_private_segment_buffer 1
		.amdhsa_user_sgpr_dispatch_ptr 0
		.amdhsa_user_sgpr_queue_ptr 0
		.amdhsa_user_sgpr_kernarg_segment_ptr 1
		.amdhsa_user_sgpr_dispatch_id 0
		.amdhsa_user_sgpr_flat_scratch_init 0
		.amdhsa_user_sgpr_private_segment_size 0
		.amdhsa_uses_dynamic_stack 0
		.amdhsa_system_sgpr_private_segment_wavefront_offset 0
		.amdhsa_system_sgpr_workgroup_id_x 1
		.amdhsa_system_sgpr_workgroup_id_y 1
		.amdhsa_system_sgpr_workgroup_id_z 0
		.amdhsa_system_sgpr_workgroup_info 0
		.amdhsa_system_vgpr_workitem_id 1
		.amdhsa_next_free_vgpr 29
		.amdhsa_next_free_sgpr 36
		.amdhsa_reserve_vcc 1
		.amdhsa_reserve_flat_scratch 0
		.amdhsa_float_round_mode_32 0
		.amdhsa_float_round_mode_16_64 0
		.amdhsa_float_denorm_mode_32 3
		.amdhsa_float_denorm_mode_16_64 3
		.amdhsa_dx10_clamp 1
		.amdhsa_ieee_mode 1
		.amdhsa_fp16_overflow 0
		.amdhsa_exception_fp_ieee_invalid_op 0
		.amdhsa_exception_fp_denorm_src 0
		.amdhsa_exception_fp_ieee_div_zero 0
		.amdhsa_exception_fp_ieee_overflow 0
		.amdhsa_exception_fp_ieee_underflow 0
		.amdhsa_exception_fp_ieee_inexact 0
		.amdhsa_exception_int_div_zero 0
	.end_amdhsa_kernel
	.section	.text._ZN9rocsparseL29gebsrmm_small_blockdim_kernelILi4ELi2ELi4ELi16E21rocsparse_complex_numIfEEEv20rocsparse_direction_20rocsparse_operation_iiNS_24const_host_device_scalarIT3_EEPKiS9_PKS6_iiSB_lS7_PS6_l21rocsparse_index_base_b,"axG",@progbits,_ZN9rocsparseL29gebsrmm_small_blockdim_kernelILi4ELi2ELi4ELi16E21rocsparse_complex_numIfEEEv20rocsparse_direction_20rocsparse_operation_iiNS_24const_host_device_scalarIT3_EEPKiS9_PKS6_iiSB_lS7_PS6_l21rocsparse_index_base_b,comdat
.Lfunc_end34:
	.size	_ZN9rocsparseL29gebsrmm_small_blockdim_kernelILi4ELi2ELi4ELi16E21rocsparse_complex_numIfEEEv20rocsparse_direction_20rocsparse_operation_iiNS_24const_host_device_scalarIT3_EEPKiS9_PKS6_iiSB_lS7_PS6_l21rocsparse_index_base_b, .Lfunc_end34-_ZN9rocsparseL29gebsrmm_small_blockdim_kernelILi4ELi2ELi4ELi16E21rocsparse_complex_numIfEEEv20rocsparse_direction_20rocsparse_operation_iiNS_24const_host_device_scalarIT3_EEPKiS9_PKS6_iiSB_lS7_PS6_l21rocsparse_index_base_b
                                        ; -- End function
	.set _ZN9rocsparseL29gebsrmm_small_blockdim_kernelILi4ELi2ELi4ELi16E21rocsparse_complex_numIfEEEv20rocsparse_direction_20rocsparse_operation_iiNS_24const_host_device_scalarIT3_EEPKiS9_PKS6_iiSB_lS7_PS6_l21rocsparse_index_base_b.num_vgpr, 29
	.set _ZN9rocsparseL29gebsrmm_small_blockdim_kernelILi4ELi2ELi4ELi16E21rocsparse_complex_numIfEEEv20rocsparse_direction_20rocsparse_operation_iiNS_24const_host_device_scalarIT3_EEPKiS9_PKS6_iiSB_lS7_PS6_l21rocsparse_index_base_b.num_agpr, 0
	.set _ZN9rocsparseL29gebsrmm_small_blockdim_kernelILi4ELi2ELi4ELi16E21rocsparse_complex_numIfEEEv20rocsparse_direction_20rocsparse_operation_iiNS_24const_host_device_scalarIT3_EEPKiS9_PKS6_iiSB_lS7_PS6_l21rocsparse_index_base_b.numbered_sgpr, 36
	.set _ZN9rocsparseL29gebsrmm_small_blockdim_kernelILi4ELi2ELi4ELi16E21rocsparse_complex_numIfEEEv20rocsparse_direction_20rocsparse_operation_iiNS_24const_host_device_scalarIT3_EEPKiS9_PKS6_iiSB_lS7_PS6_l21rocsparse_index_base_b.num_named_barrier, 0
	.set _ZN9rocsparseL29gebsrmm_small_blockdim_kernelILi4ELi2ELi4ELi16E21rocsparse_complex_numIfEEEv20rocsparse_direction_20rocsparse_operation_iiNS_24const_host_device_scalarIT3_EEPKiS9_PKS6_iiSB_lS7_PS6_l21rocsparse_index_base_b.private_seg_size, 0
	.set _ZN9rocsparseL29gebsrmm_small_blockdim_kernelILi4ELi2ELi4ELi16E21rocsparse_complex_numIfEEEv20rocsparse_direction_20rocsparse_operation_iiNS_24const_host_device_scalarIT3_EEPKiS9_PKS6_iiSB_lS7_PS6_l21rocsparse_index_base_b.uses_vcc, 1
	.set _ZN9rocsparseL29gebsrmm_small_blockdim_kernelILi4ELi2ELi4ELi16E21rocsparse_complex_numIfEEEv20rocsparse_direction_20rocsparse_operation_iiNS_24const_host_device_scalarIT3_EEPKiS9_PKS6_iiSB_lS7_PS6_l21rocsparse_index_base_b.uses_flat_scratch, 0
	.set _ZN9rocsparseL29gebsrmm_small_blockdim_kernelILi4ELi2ELi4ELi16E21rocsparse_complex_numIfEEEv20rocsparse_direction_20rocsparse_operation_iiNS_24const_host_device_scalarIT3_EEPKiS9_PKS6_iiSB_lS7_PS6_l21rocsparse_index_base_b.has_dyn_sized_stack, 0
	.set _ZN9rocsparseL29gebsrmm_small_blockdim_kernelILi4ELi2ELi4ELi16E21rocsparse_complex_numIfEEEv20rocsparse_direction_20rocsparse_operation_iiNS_24const_host_device_scalarIT3_EEPKiS9_PKS6_iiSB_lS7_PS6_l21rocsparse_index_base_b.has_recursion, 0
	.set _ZN9rocsparseL29gebsrmm_small_blockdim_kernelILi4ELi2ELi4ELi16E21rocsparse_complex_numIfEEEv20rocsparse_direction_20rocsparse_operation_iiNS_24const_host_device_scalarIT3_EEPKiS9_PKS6_iiSB_lS7_PS6_l21rocsparse_index_base_b.has_indirect_call, 0
	.section	.AMDGPU.csdata,"",@progbits
; Kernel info:
; codeLenInByte = 1108
; TotalNumSgprs: 40
; NumVgprs: 29
; ScratchSize: 0
; MemoryBound: 0
; FloatMode: 240
; IeeeMode: 1
; LDSByteSize: 640 bytes/workgroup (compile time only)
; SGPRBlocks: 4
; VGPRBlocks: 7
; NumSGPRsForWavesPerEU: 40
; NumVGPRsForWavesPerEU: 29
; Occupancy: 8
; WaveLimiterHint : 1
; COMPUTE_PGM_RSRC2:SCRATCH_EN: 0
; COMPUTE_PGM_RSRC2:USER_SGPR: 6
; COMPUTE_PGM_RSRC2:TRAP_HANDLER: 0
; COMPUTE_PGM_RSRC2:TGID_X_EN: 1
; COMPUTE_PGM_RSRC2:TGID_Y_EN: 1
; COMPUTE_PGM_RSRC2:TGID_Z_EN: 0
; COMPUTE_PGM_RSRC2:TIDIG_COMP_CNT: 1
	.section	.text._ZN9rocsparseL29gebsrmm_small_blockdim_kernelILi4ELi3ELi4ELi16E21rocsparse_complex_numIfEEEv20rocsparse_direction_20rocsparse_operation_iiNS_24const_host_device_scalarIT3_EEPKiS9_PKS6_iiSB_lS7_PS6_l21rocsparse_index_base_b,"axG",@progbits,_ZN9rocsparseL29gebsrmm_small_blockdim_kernelILi4ELi3ELi4ELi16E21rocsparse_complex_numIfEEEv20rocsparse_direction_20rocsparse_operation_iiNS_24const_host_device_scalarIT3_EEPKiS9_PKS6_iiSB_lS7_PS6_l21rocsparse_index_base_b,comdat
	.globl	_ZN9rocsparseL29gebsrmm_small_blockdim_kernelILi4ELi3ELi4ELi16E21rocsparse_complex_numIfEEEv20rocsparse_direction_20rocsparse_operation_iiNS_24const_host_device_scalarIT3_EEPKiS9_PKS6_iiSB_lS7_PS6_l21rocsparse_index_base_b ; -- Begin function _ZN9rocsparseL29gebsrmm_small_blockdim_kernelILi4ELi3ELi4ELi16E21rocsparse_complex_numIfEEEv20rocsparse_direction_20rocsparse_operation_iiNS_24const_host_device_scalarIT3_EEPKiS9_PKS6_iiSB_lS7_PS6_l21rocsparse_index_base_b
	.p2align	8
	.type	_ZN9rocsparseL29gebsrmm_small_blockdim_kernelILi4ELi3ELi4ELi16E21rocsparse_complex_numIfEEEv20rocsparse_direction_20rocsparse_operation_iiNS_24const_host_device_scalarIT3_EEPKiS9_PKS6_iiSB_lS7_PS6_l21rocsparse_index_base_b,@function
_ZN9rocsparseL29gebsrmm_small_blockdim_kernelILi4ELi3ELi4ELi16E21rocsparse_complex_numIfEEEv20rocsparse_direction_20rocsparse_operation_iiNS_24const_host_device_scalarIT3_EEPKiS9_PKS6_iiSB_lS7_PS6_l21rocsparse_index_base_b: ; @_ZN9rocsparseL29gebsrmm_small_blockdim_kernelILi4ELi3ELi4ELi16E21rocsparse_complex_numIfEEEv20rocsparse_direction_20rocsparse_operation_iiNS_24const_host_device_scalarIT3_EEPKiS9_PKS6_iiSB_lS7_PS6_l21rocsparse_index_base_b
; %bb.0:
	s_load_dwordx2 s[0:1], s[4:5], 0x10
	s_load_dwordx4 s[8:11], s[4:5], 0x40
	s_load_dwordx2 s[20:21], s[4:5], 0x60
	s_add_u32 s2, s4, 16
	s_addc_u32 s3, s5, 0
	s_add_u32 s12, s4, 0x48
	s_addc_u32 s13, s5, 0
	s_waitcnt lgkmcnt(0)
	s_bitcmp1_b32 s21, 0
	s_cselect_b32 s1, s3, s1
	s_cselect_b32 s0, s2, s0
	v_mov_b32_e32 v2, s0
	v_mov_b32_e32 v3, s1
	flat_load_dwordx2 v[4:5], v[2:3]
	s_cselect_b32 s0, s13, s11
	s_cselect_b32 s1, s12, s10
	v_mov_b32_e32 v2, s1
	v_mov_b32_e32 v3, s0
	flat_load_dwordx2 v[2:3], v[2:3]
	s_waitcnt vmcnt(0) lgkmcnt(0)
	v_cmp_eq_f32_e32 vcc, 0, v4
	v_cmp_eq_f32_e64 s[0:1], 0, v5
	s_and_b64 s[10:11], vcc, s[0:1]
	s_mov_b64 s[0:1], -1
	s_and_saveexec_b64 s[2:3], s[10:11]
; %bb.1:
	v_cmp_neq_f32_e32 vcc, 1.0, v2
	v_cmp_neq_f32_e64 s[0:1], 0, v3
	s_or_b64 s[0:1], vcc, s[0:1]
	s_orn2_b64 s[0:1], s[0:1], exec
; %bb.2:
	s_or_b64 exec, exec, s[2:3]
	s_and_saveexec_b64 s[2:3], s[0:1]
	s_cbranch_execz .LBB35_22
; %bb.3:
	s_load_dwordx4 s[16:19], s[4:5], 0x0
	s_mov_b32 s21, 0
	s_waitcnt lgkmcnt(0)
	s_cmp_lt_i32 s6, s18
	s_cselect_b64 s[22:23], -1, 0
	s_cmp_ge_i32 s6, s18
	s_mov_b32 s18, 0
	s_cbranch_scc1 .LBB35_5
; %bb.4:
	s_load_dwordx2 s[2:3], s[4:5], 0x18
	s_mov_b32 s0, s7
	s_ashr_i32 s7, s6, 31
	s_lshl_b64 s[10:11], s[6:7], 2
	s_mov_b32 s7, s0
	s_waitcnt lgkmcnt(0)
	s_add_u32 s0, s2, s10
	s_addc_u32 s1, s3, s11
	s_load_dwordx2 s[2:3], s[0:1], 0x0
	s_waitcnt lgkmcnt(0)
	s_sub_i32 s18, s2, s20
	s_sub_i32 s21, s3, s20
.LBB35_5:
	s_load_dwordx2 s[10:11], s[4:5], 0x50
	v_lshl_add_u32 v6, s7, 4, v1
	v_ashrrev_i32_e32 v7, 31, v6
	v_cmp_gt_i32_e64 s[0:1], s19, v6
	v_cmp_gt_u32_e64 s[2:3], 4, v0
	v_mov_b32_e32 v14, 0
	s_cmp_ge_i32 s18, s21
	v_mov_b32_e32 v16, 0
	s_cbranch_scc1 .LBB35_17
; %bb.6:
	s_load_dwordx4 s[12:15], s[4:5], 0x20
	s_load_dwordx2 s[30:31], s[4:5], 0x38
	v_mul_lo_u32 v14, s9, v6
	v_mul_lo_u32 v15, s8, v7
	v_mad_u64_u32 v[10:11], s[28:29], s8, v6, 0
	v_cmp_lt_u32_e32 vcc, 2, v0
	s_xor_b64 s[24:25], s[0:1], -1
	v_lshlrev_b64 v[8:9], 3, v[6:7]
	s_or_b64 s[24:25], s[24:25], vcc
	v_cmp_gt_u32_e32 vcc, 3, v1
	s_and_b64 s[26:27], s[2:3], vcc
	s_waitcnt lgkmcnt(0)
	v_mov_b32_e32 v13, s31
	v_add_co_u32_e32 v12, vcc, s30, v8
	v_add3_u32 v11, v11, v15, v14
	v_addc_co_u32_e32 v13, vcc, v13, v9, vcc
	v_lshlrev_b64 v[8:9], 3, v[10:11]
	v_mov_b32_e32 v10, s31
	v_add_co_u32_e32 v11, vcc, s30, v8
	v_addc_co_u32_e32 v9, vcc, v10, v9, vcc
	v_lshlrev_b32_e32 v10, 3, v0
	s_cmpk_lg_i32 s17, 0x6f
	v_add_co_u32_e32 v17, vcc, v11, v10
	s_cselect_b64 s[28:29], -1, 0
	v_addc_co_u32_e32 v18, vcc, 0, v9, vcc
	s_cmp_eq_u32 s16, 0
	v_lshl_add_u32 v14, v1, 2, v0
	v_mad_u32_u24 v9, v0, 3, v1
	s_cselect_b64 vcc, -1, 0
	v_cndmask_b32_e32 v9, v14, v9, vcc
	v_add_u32_e32 v20, 0x200, v10
	s_ashr_i32 s19, s18, 31
	v_mad_u64_u32 v[10:11], s[30:31], s18, 12, v[9:10]
	s_lshl_b64 s[16:17], s[18:19], 2
	v_lshlrev_b32_e32 v15, 3, v14
	s_add_u32 s12, s12, s16
	v_mov_b32_e32 v8, 0
	v_add_u32_e32 v19, 0x200, v15
	v_lshlrev_b32_e32 v1, 5, v1
	s_addc_u32 s13, s13, s17
	v_mov_b32_e32 v14, 0
	v_mov_b32_e32 v16, 0
	s_branch .LBB35_8
.LBB35_7:                               ;   in Loop: Header=BB35_8 Depth=1
	s_or_b64 exec, exec, s[16:17]
	s_waitcnt lgkmcnt(0)
	; wave barrier
	ds_read2_b64 v[21:24], v20 offset1:4
	ds_read_b128 v[25:28], v1
	ds_read_b64 v[29:30], v1 offset:16
	ds_read_b64 v[31:32], v20 offset:64
	s_add_i32 s18, s18, 1
	s_add_u32 s12, s12, 4
	s_waitcnt lgkmcnt(2)
	v_fmac_f32_e32 v16, v21, v25
	v_fmac_f32_e32 v14, v22, v25
	v_fma_f32 v9, -v22, v26, v16
	v_fmac_f32_e32 v14, v21, v26
	v_fmac_f32_e32 v9, v23, v27
	;; [unrolled: 1-line block ×3, first 2 shown]
	v_fma_f32 v9, -v24, v28, v9
	v_fmac_f32_e32 v14, v23, v28
	s_waitcnt lgkmcnt(0)
	v_fmac_f32_e32 v9, v31, v29
	v_fmac_f32_e32 v14, v32, v29
	s_addc_u32 s13, s13, 0
	v_fma_f32 v16, -v32, v30, v9
	v_fmac_f32_e32 v14, v31, v30
	s_cmp_ge_i32 s18, s21
	v_add_u32_e32 v10, 12, v10
	; wave barrier
	s_cbranch_scc1 .LBB35_17
.LBB35_8:                               ; =>This Inner Loop Header: Depth=1
	s_and_saveexec_b64 s[16:17], s[24:25]
	s_xor_b64 s[16:17], exec, s[16:17]
; %bb.9:                                ;   in Loop: Header=BB35_8 Depth=1
	v_mov_b32_e32 v9, v8
	ds_write_b64 v15, v[8:9]
; %bb.10:                               ;   in Loop: Header=BB35_8 Depth=1
	s_andn2_saveexec_b64 s[16:17], s[16:17]
	s_cbranch_execz .LBB35_15
; %bb.11:                               ;   in Loop: Header=BB35_8 Depth=1
	s_load_dword s7, s[12:13], 0x0
	s_mov_b64 s[34:35], -1
	s_and_b64 vcc, exec, s[28:29]
	s_waitcnt lgkmcnt(0)
	s_sub_i32 s7, s7, s20
	s_mul_i32 s30, s7, 3
	s_cbranch_vccz .LBB35_13
; %bb.12:                               ;   in Loop: Header=BB35_8 Depth=1
	v_add_u32_e32 v9, s30, v0
	v_ashrrev_i32_e32 v11, 31, v9
	v_mul_lo_u32 v23, s9, v9
	v_mad_u64_u32 v[21:22], s[34:35], s8, v9, 0
	v_mul_lo_u32 v9, s8, v11
	s_mov_b64 s[34:35], 0
	v_add3_u32 v22, v22, v9, v23
	v_lshlrev_b64 v[21:22], 3, v[21:22]
	v_add_co_u32_e32 v21, vcc, v12, v21
	v_addc_co_u32_e32 v22, vcc, v13, v22, vcc
	global_load_dwordx2 v[21:22], v[21:22], off
	s_waitcnt vmcnt(0)
	ds_write_b64 v15, v[21:22]
.LBB35_13:                              ;   in Loop: Header=BB35_8 Depth=1
	s_andn2_b64 vcc, exec, s[34:35]
	s_cbranch_vccnz .LBB35_15
; %bb.14:                               ;   in Loop: Header=BB35_8 Depth=1
	s_ashr_i32 s31, s30, 31
	s_lshl_b64 s[30:31], s[30:31], 3
	v_mov_b32_e32 v9, s31
	v_add_co_u32_e32 v21, vcc, s30, v17
	v_addc_co_u32_e32 v22, vcc, v18, v9, vcc
	global_load_dwordx2 v[21:22], v[21:22], off
	s_waitcnt vmcnt(0)
	ds_write_b64 v15, v[21:22]
.LBB35_15:                              ;   in Loop: Header=BB35_8 Depth=1
	s_or_b64 exec, exec, s[16:17]
	s_and_saveexec_b64 s[16:17], s[26:27]
	s_cbranch_execz .LBB35_7
; %bb.16:                               ;   in Loop: Header=BB35_8 Depth=1
	v_ashrrev_i32_e32 v11, 31, v10
	v_lshlrev_b64 v[21:22], 3, v[10:11]
	v_mov_b32_e32 v9, s15
	v_add_co_u32_e32 v21, vcc, s14, v21
	v_addc_co_u32_e32 v22, vcc, v9, v22, vcc
	global_load_dwordx2 v[21:22], v[21:22], off
	s_waitcnt vmcnt(0)
	ds_write_b64 v19, v[21:22]
	s_branch .LBB35_7
.LBB35_17:
	s_and_b64 s[0:1], s[22:23], s[0:1]
	s_and_b64 s[0:1], s[0:1], s[2:3]
	s_and_b64 exec, exec, s[0:1]
	s_cbranch_execz .LBB35_22
; %bb.18:
	s_load_dwordx2 s[0:1], s[4:5], 0x58
	v_lshl_add_u32 v8, s6, 2, v0
	v_cmp_neq_f32_e32 vcc, 0, v2
	v_ashrrev_i32_e32 v9, 31, v8
	s_waitcnt lgkmcnt(0)
	v_mul_lo_u32 v0, s1, v6
	v_mul_lo_u32 v1, s0, v7
	v_mad_u64_u32 v[6:7], s[0:1], s0, v6, 0
	v_cmp_neq_f32_e64 s[0:1], 0, v3
	s_or_b64 s[0:1], vcc, s[0:1]
	v_add3_u32 v7, v7, v1, v0
	v_mul_f32_e64 v0, v14, -v5
	v_mul_f32_e32 v1, v4, v14
	v_lshlrev_b64 v[6:7], 3, v[6:7]
	v_fmac_f32_e32 v0, v4, v16
	v_fmac_f32_e32 v1, v5, v16
	s_and_saveexec_b64 s[2:3], s[0:1]
	s_xor_b64 s[0:1], exec, s[2:3]
	s_cbranch_execz .LBB35_20
; %bb.19:
	v_mov_b32_e32 v4, s11
	v_add_co_u32_e32 v6, vcc, s10, v6
	v_addc_co_u32_e32 v7, vcc, v4, v7, vcc
	v_lshlrev_b64 v[4:5], 3, v[8:9]
                                        ; implicit-def: $vgpr8
	v_add_co_u32_e32 v4, vcc, v6, v4
	v_addc_co_u32_e32 v5, vcc, v7, v5, vcc
	global_load_dwordx2 v[6:7], v[4:5], off
	s_waitcnt vmcnt(0)
	v_fmac_f32_e32 v0, v2, v6
	v_fmac_f32_e32 v1, v3, v6
	v_fma_f32 v0, -v3, v7, v0
	v_fmac_f32_e32 v1, v2, v7
	global_store_dwordx2 v[4:5], v[0:1], off
                                        ; implicit-def: $vgpr6_vgpr7
                                        ; implicit-def: $vgpr0
.LBB35_20:
	s_andn2_saveexec_b64 s[0:1], s[0:1]
	s_cbranch_execz .LBB35_22
; %bb.21:
	v_mov_b32_e32 v2, s11
	v_add_co_u32_e32 v4, vcc, s10, v6
	v_addc_co_u32_e32 v5, vcc, v2, v7, vcc
	v_lshlrev_b64 v[2:3], 3, v[8:9]
	v_add_co_u32_e32 v2, vcc, v4, v2
	v_addc_co_u32_e32 v3, vcc, v5, v3, vcc
	global_store_dwordx2 v[2:3], v[0:1], off
.LBB35_22:
	s_endpgm
	.section	.rodata,"a",@progbits
	.p2align	6, 0x0
	.amdhsa_kernel _ZN9rocsparseL29gebsrmm_small_blockdim_kernelILi4ELi3ELi4ELi16E21rocsparse_complex_numIfEEEv20rocsparse_direction_20rocsparse_operation_iiNS_24const_host_device_scalarIT3_EEPKiS9_PKS6_iiSB_lS7_PS6_l21rocsparse_index_base_b
		.amdhsa_group_segment_fixed_size 640
		.amdhsa_private_segment_fixed_size 0
		.amdhsa_kernarg_size 104
		.amdhsa_user_sgpr_count 6
		.amdhsa_user_sgpr_private_segment_buffer 1
		.amdhsa_user_sgpr_dispatch_ptr 0
		.amdhsa_user_sgpr_queue_ptr 0
		.amdhsa_user_sgpr_kernarg_segment_ptr 1
		.amdhsa_user_sgpr_dispatch_id 0
		.amdhsa_user_sgpr_flat_scratch_init 0
		.amdhsa_user_sgpr_private_segment_size 0
		.amdhsa_uses_dynamic_stack 0
		.amdhsa_system_sgpr_private_segment_wavefront_offset 0
		.amdhsa_system_sgpr_workgroup_id_x 1
		.amdhsa_system_sgpr_workgroup_id_y 1
		.amdhsa_system_sgpr_workgroup_id_z 0
		.amdhsa_system_sgpr_workgroup_info 0
		.amdhsa_system_vgpr_workitem_id 1
		.amdhsa_next_free_vgpr 33
		.amdhsa_next_free_sgpr 36
		.amdhsa_reserve_vcc 1
		.amdhsa_reserve_flat_scratch 0
		.amdhsa_float_round_mode_32 0
		.amdhsa_float_round_mode_16_64 0
		.amdhsa_float_denorm_mode_32 3
		.amdhsa_float_denorm_mode_16_64 3
		.amdhsa_dx10_clamp 1
		.amdhsa_ieee_mode 1
		.amdhsa_fp16_overflow 0
		.amdhsa_exception_fp_ieee_invalid_op 0
		.amdhsa_exception_fp_denorm_src 0
		.amdhsa_exception_fp_ieee_div_zero 0
		.amdhsa_exception_fp_ieee_overflow 0
		.amdhsa_exception_fp_ieee_underflow 0
		.amdhsa_exception_fp_ieee_inexact 0
		.amdhsa_exception_int_div_zero 0
	.end_amdhsa_kernel
	.section	.text._ZN9rocsparseL29gebsrmm_small_blockdim_kernelILi4ELi3ELi4ELi16E21rocsparse_complex_numIfEEEv20rocsparse_direction_20rocsparse_operation_iiNS_24const_host_device_scalarIT3_EEPKiS9_PKS6_iiSB_lS7_PS6_l21rocsparse_index_base_b,"axG",@progbits,_ZN9rocsparseL29gebsrmm_small_blockdim_kernelILi4ELi3ELi4ELi16E21rocsparse_complex_numIfEEEv20rocsparse_direction_20rocsparse_operation_iiNS_24const_host_device_scalarIT3_EEPKiS9_PKS6_iiSB_lS7_PS6_l21rocsparse_index_base_b,comdat
.Lfunc_end35:
	.size	_ZN9rocsparseL29gebsrmm_small_blockdim_kernelILi4ELi3ELi4ELi16E21rocsparse_complex_numIfEEEv20rocsparse_direction_20rocsparse_operation_iiNS_24const_host_device_scalarIT3_EEPKiS9_PKS6_iiSB_lS7_PS6_l21rocsparse_index_base_b, .Lfunc_end35-_ZN9rocsparseL29gebsrmm_small_blockdim_kernelILi4ELi3ELi4ELi16E21rocsparse_complex_numIfEEEv20rocsparse_direction_20rocsparse_operation_iiNS_24const_host_device_scalarIT3_EEPKiS9_PKS6_iiSB_lS7_PS6_l21rocsparse_index_base_b
                                        ; -- End function
	.set _ZN9rocsparseL29gebsrmm_small_blockdim_kernelILi4ELi3ELi4ELi16E21rocsparse_complex_numIfEEEv20rocsparse_direction_20rocsparse_operation_iiNS_24const_host_device_scalarIT3_EEPKiS9_PKS6_iiSB_lS7_PS6_l21rocsparse_index_base_b.num_vgpr, 33
	.set _ZN9rocsparseL29gebsrmm_small_blockdim_kernelILi4ELi3ELi4ELi16E21rocsparse_complex_numIfEEEv20rocsparse_direction_20rocsparse_operation_iiNS_24const_host_device_scalarIT3_EEPKiS9_PKS6_iiSB_lS7_PS6_l21rocsparse_index_base_b.num_agpr, 0
	.set _ZN9rocsparseL29gebsrmm_small_blockdim_kernelILi4ELi3ELi4ELi16E21rocsparse_complex_numIfEEEv20rocsparse_direction_20rocsparse_operation_iiNS_24const_host_device_scalarIT3_EEPKiS9_PKS6_iiSB_lS7_PS6_l21rocsparse_index_base_b.numbered_sgpr, 36
	.set _ZN9rocsparseL29gebsrmm_small_blockdim_kernelILi4ELi3ELi4ELi16E21rocsparse_complex_numIfEEEv20rocsparse_direction_20rocsparse_operation_iiNS_24const_host_device_scalarIT3_EEPKiS9_PKS6_iiSB_lS7_PS6_l21rocsparse_index_base_b.num_named_barrier, 0
	.set _ZN9rocsparseL29gebsrmm_small_blockdim_kernelILi4ELi3ELi4ELi16E21rocsparse_complex_numIfEEEv20rocsparse_direction_20rocsparse_operation_iiNS_24const_host_device_scalarIT3_EEPKiS9_PKS6_iiSB_lS7_PS6_l21rocsparse_index_base_b.private_seg_size, 0
	.set _ZN9rocsparseL29gebsrmm_small_blockdim_kernelILi4ELi3ELi4ELi16E21rocsparse_complex_numIfEEEv20rocsparse_direction_20rocsparse_operation_iiNS_24const_host_device_scalarIT3_EEPKiS9_PKS6_iiSB_lS7_PS6_l21rocsparse_index_base_b.uses_vcc, 1
	.set _ZN9rocsparseL29gebsrmm_small_blockdim_kernelILi4ELi3ELi4ELi16E21rocsparse_complex_numIfEEEv20rocsparse_direction_20rocsparse_operation_iiNS_24const_host_device_scalarIT3_EEPKiS9_PKS6_iiSB_lS7_PS6_l21rocsparse_index_base_b.uses_flat_scratch, 0
	.set _ZN9rocsparseL29gebsrmm_small_blockdim_kernelILi4ELi3ELi4ELi16E21rocsparse_complex_numIfEEEv20rocsparse_direction_20rocsparse_operation_iiNS_24const_host_device_scalarIT3_EEPKiS9_PKS6_iiSB_lS7_PS6_l21rocsparse_index_base_b.has_dyn_sized_stack, 0
	.set _ZN9rocsparseL29gebsrmm_small_blockdim_kernelILi4ELi3ELi4ELi16E21rocsparse_complex_numIfEEEv20rocsparse_direction_20rocsparse_operation_iiNS_24const_host_device_scalarIT3_EEPKiS9_PKS6_iiSB_lS7_PS6_l21rocsparse_index_base_b.has_recursion, 0
	.set _ZN9rocsparseL29gebsrmm_small_blockdim_kernelILi4ELi3ELi4ELi16E21rocsparse_complex_numIfEEEv20rocsparse_direction_20rocsparse_operation_iiNS_24const_host_device_scalarIT3_EEPKiS9_PKS6_iiSB_lS7_PS6_l21rocsparse_index_base_b.has_indirect_call, 0
	.section	.AMDGPU.csdata,"",@progbits
; Kernel info:
; codeLenInByte = 1152
; TotalNumSgprs: 40
; NumVgprs: 33
; ScratchSize: 0
; MemoryBound: 0
; FloatMode: 240
; IeeeMode: 1
; LDSByteSize: 640 bytes/workgroup (compile time only)
; SGPRBlocks: 4
; VGPRBlocks: 8
; NumSGPRsForWavesPerEU: 40
; NumVGPRsForWavesPerEU: 33
; Occupancy: 7
; WaveLimiterHint : 1
; COMPUTE_PGM_RSRC2:SCRATCH_EN: 0
; COMPUTE_PGM_RSRC2:USER_SGPR: 6
; COMPUTE_PGM_RSRC2:TRAP_HANDLER: 0
; COMPUTE_PGM_RSRC2:TGID_X_EN: 1
; COMPUTE_PGM_RSRC2:TGID_Y_EN: 1
; COMPUTE_PGM_RSRC2:TGID_Z_EN: 0
; COMPUTE_PGM_RSRC2:TIDIG_COMP_CNT: 1
	.section	.text._ZN9rocsparseL29gebsrmm_small_blockdim_kernelILi1ELi2ELi2ELi16E21rocsparse_complex_numIdEEEv20rocsparse_direction_20rocsparse_operation_iiNS_24const_host_device_scalarIT3_EEPKiS9_PKS6_iiSB_lS7_PS6_l21rocsparse_index_base_b,"axG",@progbits,_ZN9rocsparseL29gebsrmm_small_blockdim_kernelILi1ELi2ELi2ELi16E21rocsparse_complex_numIdEEEv20rocsparse_direction_20rocsparse_operation_iiNS_24const_host_device_scalarIT3_EEPKiS9_PKS6_iiSB_lS7_PS6_l21rocsparse_index_base_b,comdat
	.globl	_ZN9rocsparseL29gebsrmm_small_blockdim_kernelILi1ELi2ELi2ELi16E21rocsparse_complex_numIdEEEv20rocsparse_direction_20rocsparse_operation_iiNS_24const_host_device_scalarIT3_EEPKiS9_PKS6_iiSB_lS7_PS6_l21rocsparse_index_base_b ; -- Begin function _ZN9rocsparseL29gebsrmm_small_blockdim_kernelILi1ELi2ELi2ELi16E21rocsparse_complex_numIdEEEv20rocsparse_direction_20rocsparse_operation_iiNS_24const_host_device_scalarIT3_EEPKiS9_PKS6_iiSB_lS7_PS6_l21rocsparse_index_base_b
	.p2align	8
	.type	_ZN9rocsparseL29gebsrmm_small_blockdim_kernelILi1ELi2ELi2ELi16E21rocsparse_complex_numIdEEEv20rocsparse_direction_20rocsparse_operation_iiNS_24const_host_device_scalarIT3_EEPKiS9_PKS6_iiSB_lS7_PS6_l21rocsparse_index_base_b,@function
_ZN9rocsparseL29gebsrmm_small_blockdim_kernelILi1ELi2ELi2ELi16E21rocsparse_complex_numIdEEEv20rocsparse_direction_20rocsparse_operation_iiNS_24const_host_device_scalarIT3_EEPKiS9_PKS6_iiSB_lS7_PS6_l21rocsparse_index_base_b: ; @_ZN9rocsparseL29gebsrmm_small_blockdim_kernelILi1ELi2ELi2ELi16E21rocsparse_complex_numIdEEEv20rocsparse_direction_20rocsparse_operation_iiNS_24const_host_device_scalarIT3_EEPKiS9_PKS6_iiSB_lS7_PS6_l21rocsparse_index_base_b
; %bb.0:
	s_load_dwordx2 s[0:1], s[4:5], 0x10
	s_load_dwordx4 s[8:11], s[4:5], 0x48
	s_load_dwordx2 s[20:21], s[4:5], 0x70
	s_add_u32 s2, s4, 16
	s_addc_u32 s3, s5, 0
	s_add_u32 s12, s4, 0x50
	s_addc_u32 s13, s5, 0
	s_waitcnt lgkmcnt(0)
	s_bitcmp1_b32 s21, 0
	s_cselect_b32 s1, s3, s1
	s_cselect_b32 s0, s2, s0
	v_mov_b32_e32 v2, s0
	v_mov_b32_e32 v3, s1
	flat_load_dwordx4 v[6:9], v[2:3]
	s_cselect_b32 s0, s13, s11
	s_cselect_b32 s1, s12, s10
	v_mov_b32_e32 v2, s1
	v_mov_b32_e32 v3, s0
	flat_load_dwordx4 v[2:5], v[2:3]
	s_waitcnt vmcnt(0) lgkmcnt(0)
	v_cmp_eq_f64_e32 vcc, 0, v[6:7]
	v_cmp_eq_f64_e64 s[0:1], 0, v[8:9]
	s_and_b64 s[10:11], vcc, s[0:1]
	s_mov_b64 s[0:1], -1
	s_and_saveexec_b64 s[2:3], s[10:11]
	s_cbranch_execz .LBB36_2
; %bb.1:
	v_cmp_neq_f64_e32 vcc, 1.0, v[2:3]
	v_cmp_neq_f64_e64 s[0:1], 0, v[4:5]
	s_or_b64 s[0:1], vcc, s[0:1]
	s_orn2_b64 s[0:1], s[0:1], exec
.LBB36_2:
	s_or_b64 exec, exec, s[2:3]
	s_and_saveexec_b64 s[2:3], s[0:1]
	s_cbranch_execz .LBB36_22
; %bb.3:
	s_load_dwordx4 s[16:19], s[4:5], 0x4
	s_mov_b32 s21, 0
	s_mov_b32 s24, 0
	s_waitcnt lgkmcnt(0)
	s_cmp_lt_i32 s6, s17
	s_cselect_b64 s[22:23], -1, 0
	s_cmp_ge_i32 s6, s17
	s_cbranch_scc1 .LBB36_5
; %bb.4:
	s_load_dwordx2 s[2:3], s[4:5], 0x20
	s_mov_b32 s0, s7
	s_ashr_i32 s7, s6, 31
	s_lshl_b64 s[10:11], s[6:7], 2
	s_mov_b32 s7, s0
	s_waitcnt lgkmcnt(0)
	s_add_u32 s0, s2, s10
	s_addc_u32 s1, s3, s11
	s_load_dwordx2 s[2:3], s[0:1], 0x0
	s_waitcnt lgkmcnt(0)
	s_sub_i32 s24, s2, s20
	s_sub_i32 s21, s3, s20
.LBB36_5:
	s_load_dwordx2 s[10:11], s[4:5], 0x60
	v_lshl_add_u32 v14, s7, 4, v1
	v_mov_b32_e32 v16, 0
	v_mov_b32_e32 v18, 0
	v_ashrrev_i32_e32 v15, 31, v14
	v_cmp_gt_i32_e64 s[0:1], s18, v14
	v_mov_b32_e32 v17, 0
	s_cmp_ge_i32 s24, s21
	v_mov_b32_e32 v19, 0
	v_cmp_eq_u32_e64 s[2:3], 0, v0
	s_cbranch_scc1 .LBB36_17
; %bb.6:
	s_load_dwordx4 s[12:15], s[4:5], 0x28
	s_load_dwordx2 s[28:29], s[4:5], 0x40
	v_mul_lo_u32 v17, s9, v14
	v_mul_lo_u32 v18, s8, v15
	v_mad_u64_u32 v[12:13], s[30:31], s8, v14, 0
	v_cmp_lt_u32_e32 vcc, 1, v0
	s_xor_b64 s[18:19], s[0:1], -1
	v_lshlrev_b64 v[10:11], 4, v[14:15]
	s_or_b64 s[18:19], s[18:19], vcc
	v_cmp_gt_u32_e32 vcc, 2, v1
	s_and_b64 s[26:27], s[2:3], vcc
	s_waitcnt lgkmcnt(0)
	v_mov_b32_e32 v16, s29
	v_add_co_u32_e32 v22, vcc, s28, v10
	v_add3_u32 v13, v13, v18, v17
	v_lshlrev_b32_e32 v10, 1, v1
	v_addc_co_u32_e32 v23, vcc, v16, v11, vcc
	v_add_lshl_u32 v24, v10, v0, 4
	v_lshlrev_b64 v[10:11], 4, v[12:13]
	s_cmpk_lg_i32 s16, 0x6f
	s_cselect_b64 s[16:17], -1, 0
	v_mov_b32_e32 v12, s29
	v_add_co_u32_e32 v10, vcc, s28, v10
	s_ashr_i32 s25, s24, 31
	v_addc_co_u32_e32 v11, vcc, v12, v11, vcc
	v_lshlrev_b32_e32 v12, 4, v0
	s_lshl_b64 s[28:29], s[24:25], 2
	v_add_co_u32_e32 v25, vcc, v10, v12
	s_add_u32 s12, s12, s28
	v_mov_b32_e32 v16, 0
	v_mov_b32_e32 v18, 0
	v_addc_co_u32_e32 v26, vcc, 0, v11, vcc
	v_add_u32_e32 v27, 0x200, v24
	v_add_u32_e32 v28, 0x200, v12
	v_lshlrev_b32_e32 v29, 5, v1
	s_addc_u32 s13, s13, s29
	v_lshl_add_u32 v20, s24, 1, v1
	v_mov_b32_e32 v17, 0
	v_mov_b32_e32 v19, 0
	;; [unrolled: 1-line block ×3, first 2 shown]
	s_branch .LBB36_8
.LBB36_7:                               ;   in Loop: Header=BB36_8 Depth=1
	s_or_b64 exec, exec, s[28:29]
	s_waitcnt lgkmcnt(0)
	; wave barrier
	ds_read_b128 v[30:33], v29
	ds_read_b128 v[34:37], v28
	s_add_i32 s24, s24, 1
	s_add_u32 s12, s12, 4
	s_addc_u32 s13, s13, 0
	s_cmp_ge_i32 s24, s21
	s_waitcnt lgkmcnt(0)
	v_fma_f64 v[11:12], v[34:35], v[30:31], v[18:19]
	v_fma_f64 v[16:17], v[36:37], v[30:31], v[16:17]
	v_add_u32_e32 v20, 2, v20
	v_fma_f64 v[11:12], -v[36:37], v[32:33], v[11:12]
	v_fma_f64 v[34:35], v[34:35], v[32:33], v[16:17]
	ds_read_b128 v[16:19], v28 offset:32
	ds_read_b128 v[30:33], v29 offset:16
	s_waitcnt lgkmcnt(0)
	; wave barrier
	v_fma_f64 v[11:12], v[16:17], v[30:31], v[11:12]
	v_fma_f64 v[30:31], v[18:19], v[30:31], v[34:35]
	v_fma_f64 v[18:19], -v[18:19], v[32:33], v[11:12]
	v_fma_f64 v[16:17], v[16:17], v[32:33], v[30:31]
	s_cbranch_scc1 .LBB36_17
.LBB36_8:                               ; =>This Inner Loop Header: Depth=1
	s_and_saveexec_b64 s[28:29], s[18:19]
	s_xor_b64 s[28:29], exec, s[28:29]
; %bb.9:                                ;   in Loop: Header=BB36_8 Depth=1
	v_mov_b32_e32 v11, v10
	v_mov_b32_e32 v12, v10
	;; [unrolled: 1-line block ×3, first 2 shown]
	ds_write_b128 v24, v[10:13]
; %bb.10:                               ;   in Loop: Header=BB36_8 Depth=1
	s_andn2_saveexec_b64 s[28:29], s[28:29]
	s_cbranch_execz .LBB36_15
; %bb.11:                               ;   in Loop: Header=BB36_8 Depth=1
	s_load_dword s7, s[12:13], 0x0
	s_mov_b64 s[34:35], -1
	s_and_b64 vcc, exec, s[16:17]
	s_waitcnt lgkmcnt(0)
	s_sub_i32 s7, s7, s20
	s_lshl_b32 s30, s7, 1
	s_cbranch_vccz .LBB36_13
; %bb.12:                               ;   in Loop: Header=BB36_8 Depth=1
	v_or_b32_e32 v1, s30, v0
	v_mul_lo_u32 v13, s9, v1
	v_mad_u64_u32 v[11:12], s[34:35], s8, v1, 0
	s_ashr_i32 s7, s30, 31
	s_mul_i32 s7, s8, s7
	v_add3_u32 v12, v12, s7, v13
	v_lshlrev_b64 v[11:12], 4, v[11:12]
	s_mov_b64 s[34:35], 0
	v_add_co_u32_e32 v11, vcc, v22, v11
	v_addc_co_u32_e32 v12, vcc, v23, v12, vcc
	global_load_dwordx4 v[30:33], v[11:12], off
	s_waitcnt vmcnt(0)
	ds_write2_b64 v24, v[30:31], v[32:33] offset1:1
.LBB36_13:                              ;   in Loop: Header=BB36_8 Depth=1
	s_andn2_b64 vcc, exec, s[34:35]
	s_cbranch_vccnz .LBB36_15
; %bb.14:                               ;   in Loop: Header=BB36_8 Depth=1
	s_ashr_i32 s31, s30, 31
	s_lshl_b64 s[30:31], s[30:31], 4
	v_mov_b32_e32 v1, s31
	v_add_co_u32_e32 v11, vcc, s30, v25
	v_addc_co_u32_e32 v12, vcc, v26, v1, vcc
	global_load_dwordx4 v[30:33], v[11:12], off
	s_waitcnt vmcnt(0)
	ds_write2_b64 v24, v[30:31], v[32:33] offset1:1
.LBB36_15:                              ;   in Loop: Header=BB36_8 Depth=1
	s_or_b64 exec, exec, s[28:29]
	s_and_saveexec_b64 s[28:29], s[26:27]
	s_cbranch_execz .LBB36_7
; %bb.16:                               ;   in Loop: Header=BB36_8 Depth=1
	v_ashrrev_i32_e32 v21, 31, v20
	v_lshlrev_b64 v[11:12], 4, v[20:21]
	v_mov_b32_e32 v1, s15
	v_add_co_u32_e32 v11, vcc, s14, v11
	v_addc_co_u32_e32 v12, vcc, v1, v12, vcc
	global_load_dwordx4 v[30:33], v[11:12], off
	s_waitcnt vmcnt(0)
	ds_write2_b64 v27, v[30:31], v[32:33] offset1:1
	s_branch .LBB36_7
.LBB36_17:
	s_and_b64 s[0:1], s[2:3], s[0:1]
	s_and_b64 s[0:1], s[22:23], s[0:1]
	s_and_b64 exec, exec, s[0:1]
	s_cbranch_execz .LBB36_22
; %bb.18:
	v_mul_f64 v[10:11], v[16:17], -v[8:9]
	v_mul_f64 v[12:13], v[6:7], v[16:17]
	s_load_dwordx2 s[2:3], s[4:5], 0x68
	v_cmp_neq_f64_e32 vcc, 0, v[2:3]
	v_cmp_neq_f64_e64 s[0:1], 0, v[4:5]
	v_add_u32_e32 v0, s6, v0
	s_waitcnt lgkmcnt(0)
	v_mul_lo_u32 v1, s3, v14
	v_fma_f64 v[6:7], v[6:7], v[18:19], v[10:11]
	v_fma_f64 v[8:9], v[8:9], v[18:19], v[12:13]
	v_mul_lo_u32 v16, s2, v15
	v_mad_u64_u32 v[14:15], s[2:3], s2, v14, 0
	s_or_b64 s[0:1], vcc, s[0:1]
	v_add3_u32 v15, v15, v16, v1
	v_lshlrev_b64 v[10:11], 4, v[14:15]
	v_ashrrev_i32_e32 v1, 31, v0
	s_and_saveexec_b64 s[2:3], s[0:1]
	s_xor_b64 s[0:1], exec, s[2:3]
	s_cbranch_execz .LBB36_20
; %bb.19:
	v_mov_b32_e32 v12, s11
	v_add_co_u32_e32 v10, vcc, s10, v10
	v_lshlrev_b64 v[0:1], 4, v[0:1]
	v_addc_co_u32_e32 v11, vcc, v12, v11, vcc
	v_add_co_u32_e32 v14, vcc, v10, v0
	v_addc_co_u32_e32 v15, vcc, v11, v1, vcc
	global_load_dwordx4 v[10:13], v[14:15], off
	s_waitcnt vmcnt(0)
	v_fma_f64 v[0:1], v[2:3], v[10:11], v[6:7]
	v_fma_f64 v[6:7], v[4:5], v[10:11], v[8:9]
                                        ; implicit-def: $vgpr10_vgpr11
	v_fma_f64 v[0:1], -v[4:5], v[12:13], v[0:1]
	v_fma_f64 v[2:3], v[2:3], v[12:13], v[6:7]
                                        ; implicit-def: $vgpr6_vgpr7
	global_store_dwordx4 v[14:15], v[0:3], off
                                        ; implicit-def: $vgpr0
.LBB36_20:
	s_andn2_saveexec_b64 s[0:1], s[0:1]
	s_cbranch_execz .LBB36_22
; %bb.21:
	v_mov_b32_e32 v2, s11
	v_add_co_u32_e32 v3, vcc, s10, v10
	v_lshlrev_b64 v[0:1], 4, v[0:1]
	v_addc_co_u32_e32 v2, vcc, v2, v11, vcc
	v_add_co_u32_e32 v0, vcc, v3, v0
	v_addc_co_u32_e32 v1, vcc, v2, v1, vcc
	global_store_dwordx4 v[0:1], v[6:9], off
.LBB36_22:
	s_endpgm
	.section	.rodata,"a",@progbits
	.p2align	6, 0x0
	.amdhsa_kernel _ZN9rocsparseL29gebsrmm_small_blockdim_kernelILi1ELi2ELi2ELi16E21rocsparse_complex_numIdEEEv20rocsparse_direction_20rocsparse_operation_iiNS_24const_host_device_scalarIT3_EEPKiS9_PKS6_iiSB_lS7_PS6_l21rocsparse_index_base_b
		.amdhsa_group_segment_fixed_size 576
		.amdhsa_private_segment_fixed_size 0
		.amdhsa_kernarg_size 120
		.amdhsa_user_sgpr_count 6
		.amdhsa_user_sgpr_private_segment_buffer 1
		.amdhsa_user_sgpr_dispatch_ptr 0
		.amdhsa_user_sgpr_queue_ptr 0
		.amdhsa_user_sgpr_kernarg_segment_ptr 1
		.amdhsa_user_sgpr_dispatch_id 0
		.amdhsa_user_sgpr_flat_scratch_init 0
		.amdhsa_user_sgpr_private_segment_size 0
		.amdhsa_uses_dynamic_stack 0
		.amdhsa_system_sgpr_private_segment_wavefront_offset 0
		.amdhsa_system_sgpr_workgroup_id_x 1
		.amdhsa_system_sgpr_workgroup_id_y 1
		.amdhsa_system_sgpr_workgroup_id_z 0
		.amdhsa_system_sgpr_workgroup_info 0
		.amdhsa_system_vgpr_workitem_id 1
		.amdhsa_next_free_vgpr 38
		.amdhsa_next_free_sgpr 36
		.amdhsa_reserve_vcc 1
		.amdhsa_reserve_flat_scratch 0
		.amdhsa_float_round_mode_32 0
		.amdhsa_float_round_mode_16_64 0
		.amdhsa_float_denorm_mode_32 3
		.amdhsa_float_denorm_mode_16_64 3
		.amdhsa_dx10_clamp 1
		.amdhsa_ieee_mode 1
		.amdhsa_fp16_overflow 0
		.amdhsa_exception_fp_ieee_invalid_op 0
		.amdhsa_exception_fp_denorm_src 0
		.amdhsa_exception_fp_ieee_div_zero 0
		.amdhsa_exception_fp_ieee_overflow 0
		.amdhsa_exception_fp_ieee_underflow 0
		.amdhsa_exception_fp_ieee_inexact 0
		.amdhsa_exception_int_div_zero 0
	.end_amdhsa_kernel
	.section	.text._ZN9rocsparseL29gebsrmm_small_blockdim_kernelILi1ELi2ELi2ELi16E21rocsparse_complex_numIdEEEv20rocsparse_direction_20rocsparse_operation_iiNS_24const_host_device_scalarIT3_EEPKiS9_PKS6_iiSB_lS7_PS6_l21rocsparse_index_base_b,"axG",@progbits,_ZN9rocsparseL29gebsrmm_small_blockdim_kernelILi1ELi2ELi2ELi16E21rocsparse_complex_numIdEEEv20rocsparse_direction_20rocsparse_operation_iiNS_24const_host_device_scalarIT3_EEPKiS9_PKS6_iiSB_lS7_PS6_l21rocsparse_index_base_b,comdat
.Lfunc_end36:
	.size	_ZN9rocsparseL29gebsrmm_small_blockdim_kernelILi1ELi2ELi2ELi16E21rocsparse_complex_numIdEEEv20rocsparse_direction_20rocsparse_operation_iiNS_24const_host_device_scalarIT3_EEPKiS9_PKS6_iiSB_lS7_PS6_l21rocsparse_index_base_b, .Lfunc_end36-_ZN9rocsparseL29gebsrmm_small_blockdim_kernelILi1ELi2ELi2ELi16E21rocsparse_complex_numIdEEEv20rocsparse_direction_20rocsparse_operation_iiNS_24const_host_device_scalarIT3_EEPKiS9_PKS6_iiSB_lS7_PS6_l21rocsparse_index_base_b
                                        ; -- End function
	.set _ZN9rocsparseL29gebsrmm_small_blockdim_kernelILi1ELi2ELi2ELi16E21rocsparse_complex_numIdEEEv20rocsparse_direction_20rocsparse_operation_iiNS_24const_host_device_scalarIT3_EEPKiS9_PKS6_iiSB_lS7_PS6_l21rocsparse_index_base_b.num_vgpr, 38
	.set _ZN9rocsparseL29gebsrmm_small_blockdim_kernelILi1ELi2ELi2ELi16E21rocsparse_complex_numIdEEEv20rocsparse_direction_20rocsparse_operation_iiNS_24const_host_device_scalarIT3_EEPKiS9_PKS6_iiSB_lS7_PS6_l21rocsparse_index_base_b.num_agpr, 0
	.set _ZN9rocsparseL29gebsrmm_small_blockdim_kernelILi1ELi2ELi2ELi16E21rocsparse_complex_numIdEEEv20rocsparse_direction_20rocsparse_operation_iiNS_24const_host_device_scalarIT3_EEPKiS9_PKS6_iiSB_lS7_PS6_l21rocsparse_index_base_b.numbered_sgpr, 36
	.set _ZN9rocsparseL29gebsrmm_small_blockdim_kernelILi1ELi2ELi2ELi16E21rocsparse_complex_numIdEEEv20rocsparse_direction_20rocsparse_operation_iiNS_24const_host_device_scalarIT3_EEPKiS9_PKS6_iiSB_lS7_PS6_l21rocsparse_index_base_b.num_named_barrier, 0
	.set _ZN9rocsparseL29gebsrmm_small_blockdim_kernelILi1ELi2ELi2ELi16E21rocsparse_complex_numIdEEEv20rocsparse_direction_20rocsparse_operation_iiNS_24const_host_device_scalarIT3_EEPKiS9_PKS6_iiSB_lS7_PS6_l21rocsparse_index_base_b.private_seg_size, 0
	.set _ZN9rocsparseL29gebsrmm_small_blockdim_kernelILi1ELi2ELi2ELi16E21rocsparse_complex_numIdEEEv20rocsparse_direction_20rocsparse_operation_iiNS_24const_host_device_scalarIT3_EEPKiS9_PKS6_iiSB_lS7_PS6_l21rocsparse_index_base_b.uses_vcc, 1
	.set _ZN9rocsparseL29gebsrmm_small_blockdim_kernelILi1ELi2ELi2ELi16E21rocsparse_complex_numIdEEEv20rocsparse_direction_20rocsparse_operation_iiNS_24const_host_device_scalarIT3_EEPKiS9_PKS6_iiSB_lS7_PS6_l21rocsparse_index_base_b.uses_flat_scratch, 0
	.set _ZN9rocsparseL29gebsrmm_small_blockdim_kernelILi1ELi2ELi2ELi16E21rocsparse_complex_numIdEEEv20rocsparse_direction_20rocsparse_operation_iiNS_24const_host_device_scalarIT3_EEPKiS9_PKS6_iiSB_lS7_PS6_l21rocsparse_index_base_b.has_dyn_sized_stack, 0
	.set _ZN9rocsparseL29gebsrmm_small_blockdim_kernelILi1ELi2ELi2ELi16E21rocsparse_complex_numIdEEEv20rocsparse_direction_20rocsparse_operation_iiNS_24const_host_device_scalarIT3_EEPKiS9_PKS6_iiSB_lS7_PS6_l21rocsparse_index_base_b.has_recursion, 0
	.set _ZN9rocsparseL29gebsrmm_small_blockdim_kernelILi1ELi2ELi2ELi16E21rocsparse_complex_numIdEEEv20rocsparse_direction_20rocsparse_operation_iiNS_24const_host_device_scalarIT3_EEPKiS9_PKS6_iiSB_lS7_PS6_l21rocsparse_index_base_b.has_indirect_call, 0
	.section	.AMDGPU.csdata,"",@progbits
; Kernel info:
; codeLenInByte = 1180
; TotalNumSgprs: 40
; NumVgprs: 38
; ScratchSize: 0
; MemoryBound: 0
; FloatMode: 240
; IeeeMode: 1
; LDSByteSize: 576 bytes/workgroup (compile time only)
; SGPRBlocks: 4
; VGPRBlocks: 9
; NumSGPRsForWavesPerEU: 40
; NumVGPRsForWavesPerEU: 38
; Occupancy: 6
; WaveLimiterHint : 0
; COMPUTE_PGM_RSRC2:SCRATCH_EN: 0
; COMPUTE_PGM_RSRC2:USER_SGPR: 6
; COMPUTE_PGM_RSRC2:TRAP_HANDLER: 0
; COMPUTE_PGM_RSRC2:TGID_X_EN: 1
; COMPUTE_PGM_RSRC2:TGID_Y_EN: 1
; COMPUTE_PGM_RSRC2:TGID_Z_EN: 0
; COMPUTE_PGM_RSRC2:TIDIG_COMP_CNT: 1
	.section	.text._ZN9rocsparseL29gebsrmm_small_blockdim_kernelILi1ELi3ELi3ELi16E21rocsparse_complex_numIdEEEv20rocsparse_direction_20rocsparse_operation_iiNS_24const_host_device_scalarIT3_EEPKiS9_PKS6_iiSB_lS7_PS6_l21rocsparse_index_base_b,"axG",@progbits,_ZN9rocsparseL29gebsrmm_small_blockdim_kernelILi1ELi3ELi3ELi16E21rocsparse_complex_numIdEEEv20rocsparse_direction_20rocsparse_operation_iiNS_24const_host_device_scalarIT3_EEPKiS9_PKS6_iiSB_lS7_PS6_l21rocsparse_index_base_b,comdat
	.globl	_ZN9rocsparseL29gebsrmm_small_blockdim_kernelILi1ELi3ELi3ELi16E21rocsparse_complex_numIdEEEv20rocsparse_direction_20rocsparse_operation_iiNS_24const_host_device_scalarIT3_EEPKiS9_PKS6_iiSB_lS7_PS6_l21rocsparse_index_base_b ; -- Begin function _ZN9rocsparseL29gebsrmm_small_blockdim_kernelILi1ELi3ELi3ELi16E21rocsparse_complex_numIdEEEv20rocsparse_direction_20rocsparse_operation_iiNS_24const_host_device_scalarIT3_EEPKiS9_PKS6_iiSB_lS7_PS6_l21rocsparse_index_base_b
	.p2align	8
	.type	_ZN9rocsparseL29gebsrmm_small_blockdim_kernelILi1ELi3ELi3ELi16E21rocsparse_complex_numIdEEEv20rocsparse_direction_20rocsparse_operation_iiNS_24const_host_device_scalarIT3_EEPKiS9_PKS6_iiSB_lS7_PS6_l21rocsparse_index_base_b,@function
_ZN9rocsparseL29gebsrmm_small_blockdim_kernelILi1ELi3ELi3ELi16E21rocsparse_complex_numIdEEEv20rocsparse_direction_20rocsparse_operation_iiNS_24const_host_device_scalarIT3_EEPKiS9_PKS6_iiSB_lS7_PS6_l21rocsparse_index_base_b: ; @_ZN9rocsparseL29gebsrmm_small_blockdim_kernelILi1ELi3ELi3ELi16E21rocsparse_complex_numIdEEEv20rocsparse_direction_20rocsparse_operation_iiNS_24const_host_device_scalarIT3_EEPKiS9_PKS6_iiSB_lS7_PS6_l21rocsparse_index_base_b
; %bb.0:
	s_load_dwordx2 s[0:1], s[4:5], 0x10
	s_load_dwordx4 s[8:11], s[4:5], 0x48
	s_load_dwordx2 s[20:21], s[4:5], 0x70
	s_add_u32 s2, s4, 16
	s_addc_u32 s3, s5, 0
	s_add_u32 s12, s4, 0x50
	s_addc_u32 s13, s5, 0
	s_waitcnt lgkmcnt(0)
	s_bitcmp1_b32 s21, 0
	s_cselect_b32 s1, s3, s1
	s_cselect_b32 s0, s2, s0
	v_mov_b32_e32 v2, s0
	v_mov_b32_e32 v3, s1
	flat_load_dwordx4 v[6:9], v[2:3]
	s_cselect_b32 s0, s13, s11
	s_cselect_b32 s1, s12, s10
	v_mov_b32_e32 v2, s1
	v_mov_b32_e32 v3, s0
	flat_load_dwordx4 v[2:5], v[2:3]
	s_waitcnt vmcnt(0) lgkmcnt(0)
	v_cmp_eq_f64_e32 vcc, 0, v[6:7]
	v_cmp_eq_f64_e64 s[0:1], 0, v[8:9]
	s_and_b64 s[10:11], vcc, s[0:1]
	s_mov_b64 s[0:1], -1
	s_and_saveexec_b64 s[2:3], s[10:11]
	s_cbranch_execz .LBB37_2
; %bb.1:
	v_cmp_neq_f64_e32 vcc, 1.0, v[2:3]
	v_cmp_neq_f64_e64 s[0:1], 0, v[4:5]
	s_or_b64 s[0:1], vcc, s[0:1]
	s_orn2_b64 s[0:1], s[0:1], exec
.LBB37_2:
	s_or_b64 exec, exec, s[2:3]
	s_and_saveexec_b64 s[2:3], s[0:1]
	s_cbranch_execz .LBB37_22
; %bb.3:
	s_load_dwordx4 s[16:19], s[4:5], 0x4
	s_mov_b32 s21, 0
	s_mov_b32 s24, 0
	s_waitcnt lgkmcnt(0)
	s_cmp_lt_i32 s6, s17
	s_cselect_b64 s[22:23], -1, 0
	s_cmp_ge_i32 s6, s17
	s_cbranch_scc1 .LBB37_5
; %bb.4:
	s_load_dwordx2 s[2:3], s[4:5], 0x20
	s_mov_b32 s0, s7
	s_ashr_i32 s7, s6, 31
	s_lshl_b64 s[10:11], s[6:7], 2
	s_mov_b32 s7, s0
	s_waitcnt lgkmcnt(0)
	s_add_u32 s0, s2, s10
	s_addc_u32 s1, s3, s11
	s_load_dwordx2 s[2:3], s[0:1], 0x0
	s_waitcnt lgkmcnt(0)
	s_sub_i32 s24, s2, s20
	s_sub_i32 s21, s3, s20
.LBB37_5:
	s_load_dwordx2 s[10:11], s[4:5], 0x60
	v_lshl_add_u32 v14, s7, 4, v1
	v_mov_b32_e32 v18, 0
	v_mov_b32_e32 v20, 0
	v_ashrrev_i32_e32 v15, 31, v14
	v_cmp_gt_i32_e64 s[0:1], s18, v14
	v_mov_b32_e32 v19, 0
	s_cmp_ge_i32 s24, s21
	v_mov_b32_e32 v21, 0
	v_cmp_eq_u32_e64 s[2:3], 0, v0
	s_cbranch_scc1 .LBB37_17
; %bb.6:
	s_load_dwordx4 s[12:15], s[4:5], 0x28
	s_load_dwordx2 s[28:29], s[4:5], 0x40
	v_mul_lo_u32 v17, s9, v14
	v_mul_lo_u32 v18, s8, v15
	v_mad_u64_u32 v[12:13], s[30:31], s8, v14, 0
	v_cmp_lt_u32_e32 vcc, 2, v0
	s_xor_b64 s[18:19], s[0:1], -1
	v_lshlrev_b64 v[10:11], 4, v[14:15]
	s_or_b64 s[18:19], s[18:19], vcc
	v_cmp_gt_u32_e32 vcc, 3, v1
	s_and_b64 s[26:27], s[2:3], vcc
	s_waitcnt lgkmcnt(0)
	v_mov_b32_e32 v16, s29
	v_add_co_u32_e32 v22, vcc, s28, v10
	v_add3_u32 v13, v13, v18, v17
	v_addc_co_u32_e32 v23, vcc, v16, v11, vcc
	s_cmpk_lg_i32 s16, 0x6f
	v_lshlrev_b64 v[10:11], 4, v[12:13]
	s_cselect_b64 s[16:17], -1, 0
	s_ashr_i32 s25, s24, 31
	v_mov_b32_e32 v12, s29
	v_add_co_u32_e32 v10, vcc, s28, v10
	s_lshl_b64 s[28:29], s[24:25], 2
	v_mul_u32_u24_e32 v16, 3, v1
	s_add_u32 s12, s12, s28
	v_add_lshl_u32 v24, v16, v0, 4
	v_lshlrev_b32_e32 v29, 4, v16
	s_addc_u32 s13, s13, s29
	v_mad_u64_u32 v[16:17], s[28:29], s24, 3, v[1:2]
	v_addc_co_u32_e32 v11, vcc, v12, v11, vcc
	v_lshlrev_b32_e32 v12, 4, v0
	v_add_co_u32_e32 v25, vcc, v10, v12
	v_mov_b32_e32 v18, 0
	v_mov_b32_e32 v20, 0
	v_addc_co_u32_e32 v26, vcc, 0, v11, vcc
	v_add_u32_e32 v27, 0x300, v24
	v_add_u32_e32 v28, 0x300, v12
	v_mov_b32_e32 v19, 0
	v_mov_b32_e32 v21, 0
	;; [unrolled: 1-line block ×3, first 2 shown]
	s_branch .LBB37_8
.LBB37_7:                               ;   in Loop: Header=BB37_8 Depth=1
	s_or_b64 exec, exec, s[28:29]
	s_waitcnt lgkmcnt(0)
	; wave barrier
	ds_read_b128 v[30:33], v29
	ds_read_b128 v[34:37], v28
	s_add_i32 s24, s24, 1
	s_add_u32 s12, s12, 4
	s_addc_u32 s13, s13, 0
	s_cmp_ge_i32 s24, s21
	s_waitcnt lgkmcnt(0)
	v_fma_f64 v[11:12], v[34:35], v[30:31], v[20:21]
	v_fma_f64 v[17:18], v[36:37], v[30:31], v[18:19]
	v_add_u32_e32 v16, 3, v16
	v_fma_f64 v[11:12], -v[36:37], v[32:33], v[11:12]
	v_fma_f64 v[34:35], v[34:35], v[32:33], v[17:18]
	ds_read_b128 v[17:20], v28 offset:48
	ds_read_b128 v[30:33], v29 offset:16
	s_waitcnt lgkmcnt(0)
	v_fma_f64 v[11:12], v[17:18], v[30:31], v[11:12]
	v_fma_f64 v[30:31], v[19:20], v[30:31], v[34:35]
	v_fma_f64 v[11:12], -v[19:20], v[32:33], v[11:12]
	v_fma_f64 v[34:35], v[17:18], v[32:33], v[30:31]
	ds_read_b128 v[17:20], v28 offset:96
	ds_read_b128 v[30:33], v29 offset:32
	s_waitcnt lgkmcnt(0)
	; wave barrier
	v_fma_f64 v[11:12], v[17:18], v[30:31], v[11:12]
	v_fma_f64 v[30:31], v[19:20], v[30:31], v[34:35]
	v_fma_f64 v[20:21], -v[19:20], v[32:33], v[11:12]
	v_fma_f64 v[18:19], v[17:18], v[32:33], v[30:31]
	s_cbranch_scc1 .LBB37_17
.LBB37_8:                               ; =>This Inner Loop Header: Depth=1
	s_and_saveexec_b64 s[28:29], s[18:19]
	s_xor_b64 s[28:29], exec, s[28:29]
; %bb.9:                                ;   in Loop: Header=BB37_8 Depth=1
	v_mov_b32_e32 v11, v10
	v_mov_b32_e32 v12, v10
	;; [unrolled: 1-line block ×3, first 2 shown]
	ds_write_b128 v24, v[10:13]
; %bb.10:                               ;   in Loop: Header=BB37_8 Depth=1
	s_andn2_saveexec_b64 s[28:29], s[28:29]
	s_cbranch_execz .LBB37_15
; %bb.11:                               ;   in Loop: Header=BB37_8 Depth=1
	s_load_dword s7, s[12:13], 0x0
	s_mov_b64 s[34:35], -1
	s_and_b64 vcc, exec, s[16:17]
	s_waitcnt lgkmcnt(0)
	s_sub_i32 s7, s7, s20
	s_mul_i32 s30, s7, 3
	s_cbranch_vccz .LBB37_13
; %bb.12:                               ;   in Loop: Header=BB37_8 Depth=1
	v_add_u32_e32 v1, s30, v0
	v_ashrrev_i32_e32 v13, 31, v1
	v_mul_lo_u32 v17, s9, v1
	v_mad_u64_u32 v[11:12], s[34:35], s8, v1, 0
	v_mul_lo_u32 v1, s8, v13
	s_mov_b64 s[34:35], 0
	v_add3_u32 v12, v12, v1, v17
	v_lshlrev_b64 v[11:12], 4, v[11:12]
	v_add_co_u32_e32 v11, vcc, v22, v11
	v_addc_co_u32_e32 v12, vcc, v23, v12, vcc
	global_load_dwordx4 v[30:33], v[11:12], off
	s_waitcnt vmcnt(0)
	ds_write2_b64 v24, v[30:31], v[32:33] offset1:1
.LBB37_13:                              ;   in Loop: Header=BB37_8 Depth=1
	s_andn2_b64 vcc, exec, s[34:35]
	s_cbranch_vccnz .LBB37_15
; %bb.14:                               ;   in Loop: Header=BB37_8 Depth=1
	s_ashr_i32 s31, s30, 31
	s_lshl_b64 s[30:31], s[30:31], 4
	v_mov_b32_e32 v1, s31
	v_add_co_u32_e32 v11, vcc, s30, v25
	v_addc_co_u32_e32 v12, vcc, v26, v1, vcc
	global_load_dwordx4 v[30:33], v[11:12], off
	s_waitcnt vmcnt(0)
	ds_write2_b64 v24, v[30:31], v[32:33] offset1:1
.LBB37_15:                              ;   in Loop: Header=BB37_8 Depth=1
	s_or_b64 exec, exec, s[28:29]
	s_and_saveexec_b64 s[28:29], s[26:27]
	s_cbranch_execz .LBB37_7
; %bb.16:                               ;   in Loop: Header=BB37_8 Depth=1
	v_ashrrev_i32_e32 v17, 31, v16
	v_lshlrev_b64 v[11:12], 4, v[16:17]
	v_mov_b32_e32 v1, s15
	v_add_co_u32_e32 v11, vcc, s14, v11
	v_addc_co_u32_e32 v12, vcc, v1, v12, vcc
	global_load_dwordx4 v[30:33], v[11:12], off
	s_waitcnt vmcnt(0)
	ds_write2_b64 v27, v[30:31], v[32:33] offset1:1
	s_branch .LBB37_7
.LBB37_17:
	s_and_b64 s[0:1], s[2:3], s[0:1]
	s_and_b64 s[0:1], s[22:23], s[0:1]
	s_and_b64 exec, exec, s[0:1]
	s_cbranch_execz .LBB37_22
; %bb.18:
	v_mul_f64 v[10:11], v[18:19], -v[8:9]
	v_mul_f64 v[12:13], v[6:7], v[18:19]
	s_load_dwordx2 s[2:3], s[4:5], 0x68
	v_cmp_neq_f64_e32 vcc, 0, v[2:3]
	v_cmp_neq_f64_e64 s[0:1], 0, v[4:5]
	v_add_u32_e32 v0, s6, v0
	s_waitcnt lgkmcnt(0)
	v_mul_lo_u32 v1, s3, v14
	v_fma_f64 v[6:7], v[6:7], v[20:21], v[10:11]
	v_fma_f64 v[8:9], v[8:9], v[20:21], v[12:13]
	v_mul_lo_u32 v16, s2, v15
	v_mad_u64_u32 v[14:15], s[2:3], s2, v14, 0
	s_or_b64 s[0:1], vcc, s[0:1]
	v_add3_u32 v15, v15, v16, v1
	v_lshlrev_b64 v[10:11], 4, v[14:15]
	v_ashrrev_i32_e32 v1, 31, v0
	s_and_saveexec_b64 s[2:3], s[0:1]
	s_xor_b64 s[0:1], exec, s[2:3]
	s_cbranch_execz .LBB37_20
; %bb.19:
	v_mov_b32_e32 v12, s11
	v_add_co_u32_e32 v10, vcc, s10, v10
	v_lshlrev_b64 v[0:1], 4, v[0:1]
	v_addc_co_u32_e32 v11, vcc, v12, v11, vcc
	v_add_co_u32_e32 v14, vcc, v10, v0
	v_addc_co_u32_e32 v15, vcc, v11, v1, vcc
	global_load_dwordx4 v[10:13], v[14:15], off
	s_waitcnt vmcnt(0)
	v_fma_f64 v[0:1], v[2:3], v[10:11], v[6:7]
	v_fma_f64 v[6:7], v[4:5], v[10:11], v[8:9]
                                        ; implicit-def: $vgpr10_vgpr11
	v_fma_f64 v[0:1], -v[4:5], v[12:13], v[0:1]
	v_fma_f64 v[2:3], v[2:3], v[12:13], v[6:7]
                                        ; implicit-def: $vgpr6_vgpr7
	global_store_dwordx4 v[14:15], v[0:3], off
                                        ; implicit-def: $vgpr0
.LBB37_20:
	s_andn2_saveexec_b64 s[0:1], s[0:1]
	s_cbranch_execz .LBB37_22
; %bb.21:
	v_mov_b32_e32 v2, s11
	v_add_co_u32_e32 v3, vcc, s10, v10
	v_lshlrev_b64 v[0:1], 4, v[0:1]
	v_addc_co_u32_e32 v2, vcc, v2, v11, vcc
	v_add_co_u32_e32 v0, vcc, v3, v0
	v_addc_co_u32_e32 v1, vcc, v2, v1, vcc
	global_store_dwordx4 v[0:1], v[6:9], off
.LBB37_22:
	s_endpgm
	.section	.rodata,"a",@progbits
	.p2align	6, 0x0
	.amdhsa_kernel _ZN9rocsparseL29gebsrmm_small_blockdim_kernelILi1ELi3ELi3ELi16E21rocsparse_complex_numIdEEEv20rocsparse_direction_20rocsparse_operation_iiNS_24const_host_device_scalarIT3_EEPKiS9_PKS6_iiSB_lS7_PS6_l21rocsparse_index_base_b
		.amdhsa_group_segment_fixed_size 912
		.amdhsa_private_segment_fixed_size 0
		.amdhsa_kernarg_size 120
		.amdhsa_user_sgpr_count 6
		.amdhsa_user_sgpr_private_segment_buffer 1
		.amdhsa_user_sgpr_dispatch_ptr 0
		.amdhsa_user_sgpr_queue_ptr 0
		.amdhsa_user_sgpr_kernarg_segment_ptr 1
		.amdhsa_user_sgpr_dispatch_id 0
		.amdhsa_user_sgpr_flat_scratch_init 0
		.amdhsa_user_sgpr_private_segment_size 0
		.amdhsa_uses_dynamic_stack 0
		.amdhsa_system_sgpr_private_segment_wavefront_offset 0
		.amdhsa_system_sgpr_workgroup_id_x 1
		.amdhsa_system_sgpr_workgroup_id_y 1
		.amdhsa_system_sgpr_workgroup_id_z 0
		.amdhsa_system_sgpr_workgroup_info 0
		.amdhsa_system_vgpr_workitem_id 1
		.amdhsa_next_free_vgpr 38
		.amdhsa_next_free_sgpr 36
		.amdhsa_reserve_vcc 1
		.amdhsa_reserve_flat_scratch 0
		.amdhsa_float_round_mode_32 0
		.amdhsa_float_round_mode_16_64 0
		.amdhsa_float_denorm_mode_32 3
		.amdhsa_float_denorm_mode_16_64 3
		.amdhsa_dx10_clamp 1
		.amdhsa_ieee_mode 1
		.amdhsa_fp16_overflow 0
		.amdhsa_exception_fp_ieee_invalid_op 0
		.amdhsa_exception_fp_denorm_src 0
		.amdhsa_exception_fp_ieee_div_zero 0
		.amdhsa_exception_fp_ieee_overflow 0
		.amdhsa_exception_fp_ieee_underflow 0
		.amdhsa_exception_fp_ieee_inexact 0
		.amdhsa_exception_int_div_zero 0
	.end_amdhsa_kernel
	.section	.text._ZN9rocsparseL29gebsrmm_small_blockdim_kernelILi1ELi3ELi3ELi16E21rocsparse_complex_numIdEEEv20rocsparse_direction_20rocsparse_operation_iiNS_24const_host_device_scalarIT3_EEPKiS9_PKS6_iiSB_lS7_PS6_l21rocsparse_index_base_b,"axG",@progbits,_ZN9rocsparseL29gebsrmm_small_blockdim_kernelILi1ELi3ELi3ELi16E21rocsparse_complex_numIdEEEv20rocsparse_direction_20rocsparse_operation_iiNS_24const_host_device_scalarIT3_EEPKiS9_PKS6_iiSB_lS7_PS6_l21rocsparse_index_base_b,comdat
.Lfunc_end37:
	.size	_ZN9rocsparseL29gebsrmm_small_blockdim_kernelILi1ELi3ELi3ELi16E21rocsparse_complex_numIdEEEv20rocsparse_direction_20rocsparse_operation_iiNS_24const_host_device_scalarIT3_EEPKiS9_PKS6_iiSB_lS7_PS6_l21rocsparse_index_base_b, .Lfunc_end37-_ZN9rocsparseL29gebsrmm_small_blockdim_kernelILi1ELi3ELi3ELi16E21rocsparse_complex_numIdEEEv20rocsparse_direction_20rocsparse_operation_iiNS_24const_host_device_scalarIT3_EEPKiS9_PKS6_iiSB_lS7_PS6_l21rocsparse_index_base_b
                                        ; -- End function
	.set _ZN9rocsparseL29gebsrmm_small_blockdim_kernelILi1ELi3ELi3ELi16E21rocsparse_complex_numIdEEEv20rocsparse_direction_20rocsparse_operation_iiNS_24const_host_device_scalarIT3_EEPKiS9_PKS6_iiSB_lS7_PS6_l21rocsparse_index_base_b.num_vgpr, 38
	.set _ZN9rocsparseL29gebsrmm_small_blockdim_kernelILi1ELi3ELi3ELi16E21rocsparse_complex_numIdEEEv20rocsparse_direction_20rocsparse_operation_iiNS_24const_host_device_scalarIT3_EEPKiS9_PKS6_iiSB_lS7_PS6_l21rocsparse_index_base_b.num_agpr, 0
	.set _ZN9rocsparseL29gebsrmm_small_blockdim_kernelILi1ELi3ELi3ELi16E21rocsparse_complex_numIdEEEv20rocsparse_direction_20rocsparse_operation_iiNS_24const_host_device_scalarIT3_EEPKiS9_PKS6_iiSB_lS7_PS6_l21rocsparse_index_base_b.numbered_sgpr, 36
	.set _ZN9rocsparseL29gebsrmm_small_blockdim_kernelILi1ELi3ELi3ELi16E21rocsparse_complex_numIdEEEv20rocsparse_direction_20rocsparse_operation_iiNS_24const_host_device_scalarIT3_EEPKiS9_PKS6_iiSB_lS7_PS6_l21rocsparse_index_base_b.num_named_barrier, 0
	.set _ZN9rocsparseL29gebsrmm_small_blockdim_kernelILi1ELi3ELi3ELi16E21rocsparse_complex_numIdEEEv20rocsparse_direction_20rocsparse_operation_iiNS_24const_host_device_scalarIT3_EEPKiS9_PKS6_iiSB_lS7_PS6_l21rocsparse_index_base_b.private_seg_size, 0
	.set _ZN9rocsparseL29gebsrmm_small_blockdim_kernelILi1ELi3ELi3ELi16E21rocsparse_complex_numIdEEEv20rocsparse_direction_20rocsparse_operation_iiNS_24const_host_device_scalarIT3_EEPKiS9_PKS6_iiSB_lS7_PS6_l21rocsparse_index_base_b.uses_vcc, 1
	.set _ZN9rocsparseL29gebsrmm_small_blockdim_kernelILi1ELi3ELi3ELi16E21rocsparse_complex_numIdEEEv20rocsparse_direction_20rocsparse_operation_iiNS_24const_host_device_scalarIT3_EEPKiS9_PKS6_iiSB_lS7_PS6_l21rocsparse_index_base_b.uses_flat_scratch, 0
	.set _ZN9rocsparseL29gebsrmm_small_blockdim_kernelILi1ELi3ELi3ELi16E21rocsparse_complex_numIdEEEv20rocsparse_direction_20rocsparse_operation_iiNS_24const_host_device_scalarIT3_EEPKiS9_PKS6_iiSB_lS7_PS6_l21rocsparse_index_base_b.has_dyn_sized_stack, 0
	.set _ZN9rocsparseL29gebsrmm_small_blockdim_kernelILi1ELi3ELi3ELi16E21rocsparse_complex_numIdEEEv20rocsparse_direction_20rocsparse_operation_iiNS_24const_host_device_scalarIT3_EEPKiS9_PKS6_iiSB_lS7_PS6_l21rocsparse_index_base_b.has_recursion, 0
	.set _ZN9rocsparseL29gebsrmm_small_blockdim_kernelILi1ELi3ELi3ELi16E21rocsparse_complex_numIdEEEv20rocsparse_direction_20rocsparse_operation_iiNS_24const_host_device_scalarIT3_EEPKiS9_PKS6_iiSB_lS7_PS6_l21rocsparse_index_base_b.has_indirect_call, 0
	.section	.AMDGPU.csdata,"",@progbits
; Kernel info:
; codeLenInByte = 1236
; TotalNumSgprs: 40
; NumVgprs: 38
; ScratchSize: 0
; MemoryBound: 0
; FloatMode: 240
; IeeeMode: 1
; LDSByteSize: 912 bytes/workgroup (compile time only)
; SGPRBlocks: 4
; VGPRBlocks: 9
; NumSGPRsForWavesPerEU: 40
; NumVGPRsForWavesPerEU: 38
; Occupancy: 6
; WaveLimiterHint : 0
; COMPUTE_PGM_RSRC2:SCRATCH_EN: 0
; COMPUTE_PGM_RSRC2:USER_SGPR: 6
; COMPUTE_PGM_RSRC2:TRAP_HANDLER: 0
; COMPUTE_PGM_RSRC2:TGID_X_EN: 1
; COMPUTE_PGM_RSRC2:TGID_Y_EN: 1
; COMPUTE_PGM_RSRC2:TGID_Z_EN: 0
; COMPUTE_PGM_RSRC2:TIDIG_COMP_CNT: 1
	.section	.text._ZN9rocsparseL29gebsrmm_small_blockdim_kernelILi1ELi4ELi4ELi16E21rocsparse_complex_numIdEEEv20rocsparse_direction_20rocsparse_operation_iiNS_24const_host_device_scalarIT3_EEPKiS9_PKS6_iiSB_lS7_PS6_l21rocsparse_index_base_b,"axG",@progbits,_ZN9rocsparseL29gebsrmm_small_blockdim_kernelILi1ELi4ELi4ELi16E21rocsparse_complex_numIdEEEv20rocsparse_direction_20rocsparse_operation_iiNS_24const_host_device_scalarIT3_EEPKiS9_PKS6_iiSB_lS7_PS6_l21rocsparse_index_base_b,comdat
	.globl	_ZN9rocsparseL29gebsrmm_small_blockdim_kernelILi1ELi4ELi4ELi16E21rocsparse_complex_numIdEEEv20rocsparse_direction_20rocsparse_operation_iiNS_24const_host_device_scalarIT3_EEPKiS9_PKS6_iiSB_lS7_PS6_l21rocsparse_index_base_b ; -- Begin function _ZN9rocsparseL29gebsrmm_small_blockdim_kernelILi1ELi4ELi4ELi16E21rocsparse_complex_numIdEEEv20rocsparse_direction_20rocsparse_operation_iiNS_24const_host_device_scalarIT3_EEPKiS9_PKS6_iiSB_lS7_PS6_l21rocsparse_index_base_b
	.p2align	8
	.type	_ZN9rocsparseL29gebsrmm_small_blockdim_kernelILi1ELi4ELi4ELi16E21rocsparse_complex_numIdEEEv20rocsparse_direction_20rocsparse_operation_iiNS_24const_host_device_scalarIT3_EEPKiS9_PKS6_iiSB_lS7_PS6_l21rocsparse_index_base_b,@function
_ZN9rocsparseL29gebsrmm_small_blockdim_kernelILi1ELi4ELi4ELi16E21rocsparse_complex_numIdEEEv20rocsparse_direction_20rocsparse_operation_iiNS_24const_host_device_scalarIT3_EEPKiS9_PKS6_iiSB_lS7_PS6_l21rocsparse_index_base_b: ; @_ZN9rocsparseL29gebsrmm_small_blockdim_kernelILi1ELi4ELi4ELi16E21rocsparse_complex_numIdEEEv20rocsparse_direction_20rocsparse_operation_iiNS_24const_host_device_scalarIT3_EEPKiS9_PKS6_iiSB_lS7_PS6_l21rocsparse_index_base_b
; %bb.0:
	s_load_dwordx2 s[0:1], s[4:5], 0x10
	s_load_dwordx4 s[8:11], s[4:5], 0x48
	s_load_dwordx2 s[20:21], s[4:5], 0x70
	s_add_u32 s2, s4, 16
	s_addc_u32 s3, s5, 0
	s_add_u32 s12, s4, 0x50
	s_addc_u32 s13, s5, 0
	s_waitcnt lgkmcnt(0)
	s_bitcmp1_b32 s21, 0
	s_cselect_b32 s1, s3, s1
	s_cselect_b32 s0, s2, s0
	v_mov_b32_e32 v2, s0
	v_mov_b32_e32 v3, s1
	flat_load_dwordx4 v[6:9], v[2:3]
	s_cselect_b32 s0, s13, s11
	s_cselect_b32 s1, s12, s10
	v_mov_b32_e32 v2, s1
	v_mov_b32_e32 v3, s0
	flat_load_dwordx4 v[2:5], v[2:3]
	s_waitcnt vmcnt(0) lgkmcnt(0)
	v_cmp_eq_f64_e32 vcc, 0, v[6:7]
	v_cmp_eq_f64_e64 s[0:1], 0, v[8:9]
	s_and_b64 s[10:11], vcc, s[0:1]
	s_mov_b64 s[0:1], -1
	s_and_saveexec_b64 s[2:3], s[10:11]
	s_cbranch_execz .LBB38_2
; %bb.1:
	v_cmp_neq_f64_e32 vcc, 1.0, v[2:3]
	v_cmp_neq_f64_e64 s[0:1], 0, v[4:5]
	s_or_b64 s[0:1], vcc, s[0:1]
	s_orn2_b64 s[0:1], s[0:1], exec
.LBB38_2:
	s_or_b64 exec, exec, s[2:3]
	s_and_saveexec_b64 s[2:3], s[0:1]
	s_cbranch_execz .LBB38_22
; %bb.3:
	s_load_dwordx4 s[16:19], s[4:5], 0x4
	s_mov_b32 s21, 0
	s_mov_b32 s24, 0
	s_waitcnt lgkmcnt(0)
	s_cmp_lt_i32 s6, s17
	s_cselect_b64 s[22:23], -1, 0
	s_cmp_ge_i32 s6, s17
	s_cbranch_scc1 .LBB38_5
; %bb.4:
	s_load_dwordx2 s[2:3], s[4:5], 0x20
	s_mov_b32 s0, s7
	s_ashr_i32 s7, s6, 31
	s_lshl_b64 s[10:11], s[6:7], 2
	s_mov_b32 s7, s0
	s_waitcnt lgkmcnt(0)
	s_add_u32 s0, s2, s10
	s_addc_u32 s1, s3, s11
	s_load_dwordx2 s[2:3], s[0:1], 0x0
	s_waitcnt lgkmcnt(0)
	s_sub_i32 s24, s2, s20
	s_sub_i32 s21, s3, s20
.LBB38_5:
	s_load_dwordx2 s[10:11], s[4:5], 0x60
	v_lshl_add_u32 v14, s7, 4, v1
	v_mov_b32_e32 v18, 0
	v_mov_b32_e32 v20, 0
	v_ashrrev_i32_e32 v15, 31, v14
	v_cmp_gt_i32_e64 s[0:1], s18, v14
	v_mov_b32_e32 v19, 0
	s_cmp_ge_i32 s24, s21
	v_mov_b32_e32 v21, 0
	v_cmp_eq_u32_e64 s[2:3], 0, v0
	s_cbranch_scc1 .LBB38_17
; %bb.6:
	s_load_dwordx4 s[12:15], s[4:5], 0x28
	s_load_dwordx2 s[28:29], s[4:5], 0x40
	v_mul_lo_u32 v17, s9, v14
	v_mul_lo_u32 v18, s8, v15
	v_mad_u64_u32 v[12:13], s[30:31], s8, v14, 0
	v_cmp_lt_u32_e32 vcc, 3, v0
	s_xor_b64 s[18:19], s[0:1], -1
	v_lshlrev_b64 v[10:11], 4, v[14:15]
	s_or_b64 s[18:19], s[18:19], vcc
	v_cmp_gt_u32_e32 vcc, 4, v1
	s_and_b64 s[26:27], s[2:3], vcc
	s_waitcnt lgkmcnt(0)
	v_mov_b32_e32 v16, s29
	v_add_co_u32_e32 v22, vcc, s28, v10
	v_add3_u32 v13, v13, v18, v17
	v_lshlrev_b32_e32 v10, 2, v1
	v_addc_co_u32_e32 v23, vcc, v16, v11, vcc
	v_add_lshl_u32 v24, v10, v0, 4
	v_lshlrev_b64 v[10:11], 4, v[12:13]
	s_cmpk_lg_i32 s16, 0x6f
	s_cselect_b64 s[16:17], -1, 0
	v_mov_b32_e32 v12, s29
	v_add_co_u32_e32 v10, vcc, s28, v10
	s_ashr_i32 s25, s24, 31
	v_addc_co_u32_e32 v11, vcc, v12, v11, vcc
	v_lshlrev_b32_e32 v12, 4, v0
	s_lshl_b64 s[28:29], s[24:25], 2
	v_add_co_u32_e32 v25, vcc, v10, v12
	s_add_u32 s12, s12, s28
	v_mov_b32_e32 v18, 0
	v_mov_b32_e32 v20, 0
	v_addc_co_u32_e32 v26, vcc, 0, v11, vcc
	v_add_u32_e32 v27, 0x400, v24
	v_add_u32_e32 v28, 0x400, v12
	v_lshlrev_b32_e32 v29, 6, v1
	s_addc_u32 s13, s13, s29
	v_lshl_add_u32 v16, s24, 2, v1
	v_mov_b32_e32 v19, 0
	v_mov_b32_e32 v21, 0
	;; [unrolled: 1-line block ×3, first 2 shown]
	s_branch .LBB38_8
.LBB38_7:                               ;   in Loop: Header=BB38_8 Depth=1
	s_or_b64 exec, exec, s[28:29]
	s_waitcnt lgkmcnt(0)
	; wave barrier
	ds_read_b128 v[30:33], v28
	ds_read_b128 v[34:37], v29
	s_add_i32 s24, s24, 1
	s_add_u32 s12, s12, 4
	s_addc_u32 s13, s13, 0
	s_cmp_ge_i32 s24, s21
	s_waitcnt lgkmcnt(0)
	v_fma_f64 v[11:12], v[30:31], v[34:35], v[20:21]
	v_fma_f64 v[17:18], v[32:33], v[34:35], v[18:19]
	v_add_u32_e32 v16, 4, v16
	v_fma_f64 v[11:12], -v[32:33], v[36:37], v[11:12]
	v_fma_f64 v[34:35], v[30:31], v[36:37], v[17:18]
	ds_read_b128 v[17:20], v29 offset:16
	ds_read_b128 v[30:33], v28 offset:64
	s_waitcnt lgkmcnt(0)
	v_fma_f64 v[11:12], v[30:31], v[17:18], v[11:12]
	v_fma_f64 v[17:18], v[32:33], v[17:18], v[34:35]
	v_fma_f64 v[11:12], -v[32:33], v[19:20], v[11:12]
	v_fma_f64 v[34:35], v[30:31], v[19:20], v[17:18]
	ds_read_b128 v[17:20], v28 offset:128
	ds_read_b128 v[30:33], v29 offset:32
	s_waitcnt lgkmcnt(0)
	v_fma_f64 v[11:12], v[17:18], v[30:31], v[11:12]
	v_fma_f64 v[30:31], v[19:20], v[30:31], v[34:35]
	v_fma_f64 v[11:12], -v[19:20], v[32:33], v[11:12]
	v_fma_f64 v[34:35], v[17:18], v[32:33], v[30:31]
	ds_read_b128 v[30:33], v29 offset:48
	ds_read_b128 v[17:20], v28 offset:192
	s_waitcnt lgkmcnt(0)
	; wave barrier
	v_fma_f64 v[11:12], v[17:18], v[30:31], v[11:12]
	v_fma_f64 v[30:31], v[19:20], v[30:31], v[34:35]
	v_fma_f64 v[20:21], -v[19:20], v[32:33], v[11:12]
	v_fma_f64 v[18:19], v[17:18], v[32:33], v[30:31]
	s_cbranch_scc1 .LBB38_17
.LBB38_8:                               ; =>This Inner Loop Header: Depth=1
	s_and_saveexec_b64 s[28:29], s[18:19]
	s_xor_b64 s[28:29], exec, s[28:29]
; %bb.9:                                ;   in Loop: Header=BB38_8 Depth=1
	v_mov_b32_e32 v11, v10
	v_mov_b32_e32 v12, v10
	;; [unrolled: 1-line block ×3, first 2 shown]
	ds_write_b128 v24, v[10:13]
; %bb.10:                               ;   in Loop: Header=BB38_8 Depth=1
	s_andn2_saveexec_b64 s[28:29], s[28:29]
	s_cbranch_execz .LBB38_15
; %bb.11:                               ;   in Loop: Header=BB38_8 Depth=1
	s_load_dword s7, s[12:13], 0x0
	s_mov_b64 s[34:35], -1
	s_and_b64 vcc, exec, s[16:17]
	s_waitcnt lgkmcnt(0)
	s_sub_i32 s7, s7, s20
	s_lshl_b32 s30, s7, 2
	s_cbranch_vccz .LBB38_13
; %bb.12:                               ;   in Loop: Header=BB38_8 Depth=1
	v_or_b32_e32 v1, s30, v0
	v_mul_lo_u32 v13, s9, v1
	v_mad_u64_u32 v[11:12], s[34:35], s8, v1, 0
	s_ashr_i32 s7, s30, 31
	s_mul_i32 s7, s8, s7
	v_add3_u32 v12, v12, s7, v13
	v_lshlrev_b64 v[11:12], 4, v[11:12]
	s_mov_b64 s[34:35], 0
	v_add_co_u32_e32 v11, vcc, v22, v11
	v_addc_co_u32_e32 v12, vcc, v23, v12, vcc
	global_load_dwordx4 v[30:33], v[11:12], off
	s_waitcnt vmcnt(0)
	ds_write2_b64 v24, v[30:31], v[32:33] offset1:1
.LBB38_13:                              ;   in Loop: Header=BB38_8 Depth=1
	s_andn2_b64 vcc, exec, s[34:35]
	s_cbranch_vccnz .LBB38_15
; %bb.14:                               ;   in Loop: Header=BB38_8 Depth=1
	s_ashr_i32 s31, s30, 31
	s_lshl_b64 s[30:31], s[30:31], 4
	v_mov_b32_e32 v1, s31
	v_add_co_u32_e32 v11, vcc, s30, v25
	v_addc_co_u32_e32 v12, vcc, v26, v1, vcc
	global_load_dwordx4 v[30:33], v[11:12], off
	s_waitcnt vmcnt(0)
	ds_write2_b64 v24, v[30:31], v[32:33] offset1:1
.LBB38_15:                              ;   in Loop: Header=BB38_8 Depth=1
	s_or_b64 exec, exec, s[28:29]
	s_and_saveexec_b64 s[28:29], s[26:27]
	s_cbranch_execz .LBB38_7
; %bb.16:                               ;   in Loop: Header=BB38_8 Depth=1
	v_ashrrev_i32_e32 v17, 31, v16
	v_lshlrev_b64 v[11:12], 4, v[16:17]
	v_mov_b32_e32 v1, s15
	v_add_co_u32_e32 v11, vcc, s14, v11
	v_addc_co_u32_e32 v12, vcc, v1, v12, vcc
	global_load_dwordx4 v[30:33], v[11:12], off
	s_waitcnt vmcnt(0)
	ds_write2_b64 v27, v[30:31], v[32:33] offset1:1
	s_branch .LBB38_7
.LBB38_17:
	s_and_b64 s[0:1], s[2:3], s[0:1]
	s_and_b64 s[0:1], s[22:23], s[0:1]
	s_and_b64 exec, exec, s[0:1]
	s_cbranch_execz .LBB38_22
; %bb.18:
	v_mul_f64 v[10:11], v[18:19], -v[8:9]
	v_mul_f64 v[12:13], v[6:7], v[18:19]
	s_load_dwordx2 s[2:3], s[4:5], 0x68
	v_cmp_neq_f64_e32 vcc, 0, v[2:3]
	v_cmp_neq_f64_e64 s[0:1], 0, v[4:5]
	v_add_u32_e32 v0, s6, v0
	s_waitcnt lgkmcnt(0)
	v_mul_lo_u32 v1, s3, v14
	v_fma_f64 v[6:7], v[6:7], v[20:21], v[10:11]
	v_fma_f64 v[8:9], v[8:9], v[20:21], v[12:13]
	v_mul_lo_u32 v16, s2, v15
	v_mad_u64_u32 v[14:15], s[2:3], s2, v14, 0
	s_or_b64 s[0:1], vcc, s[0:1]
	v_add3_u32 v15, v15, v16, v1
	v_lshlrev_b64 v[10:11], 4, v[14:15]
	v_ashrrev_i32_e32 v1, 31, v0
	s_and_saveexec_b64 s[2:3], s[0:1]
	s_xor_b64 s[0:1], exec, s[2:3]
	s_cbranch_execz .LBB38_20
; %bb.19:
	v_mov_b32_e32 v12, s11
	v_add_co_u32_e32 v10, vcc, s10, v10
	v_lshlrev_b64 v[0:1], 4, v[0:1]
	v_addc_co_u32_e32 v11, vcc, v12, v11, vcc
	v_add_co_u32_e32 v14, vcc, v10, v0
	v_addc_co_u32_e32 v15, vcc, v11, v1, vcc
	global_load_dwordx4 v[10:13], v[14:15], off
	s_waitcnt vmcnt(0)
	v_fma_f64 v[0:1], v[2:3], v[10:11], v[6:7]
	v_fma_f64 v[6:7], v[4:5], v[10:11], v[8:9]
                                        ; implicit-def: $vgpr10_vgpr11
	v_fma_f64 v[0:1], -v[4:5], v[12:13], v[0:1]
	v_fma_f64 v[2:3], v[2:3], v[12:13], v[6:7]
                                        ; implicit-def: $vgpr6_vgpr7
	global_store_dwordx4 v[14:15], v[0:3], off
                                        ; implicit-def: $vgpr0
.LBB38_20:
	s_andn2_saveexec_b64 s[0:1], s[0:1]
	s_cbranch_execz .LBB38_22
; %bb.21:
	v_mov_b32_e32 v2, s11
	v_add_co_u32_e32 v3, vcc, s10, v10
	v_lshlrev_b64 v[0:1], 4, v[0:1]
	v_addc_co_u32_e32 v2, vcc, v2, v11, vcc
	v_add_co_u32_e32 v0, vcc, v3, v0
	v_addc_co_u32_e32 v1, vcc, v2, v1, vcc
	global_store_dwordx4 v[0:1], v[6:9], off
.LBB38_22:
	s_endpgm
	.section	.rodata,"a",@progbits
	.p2align	6, 0x0
	.amdhsa_kernel _ZN9rocsparseL29gebsrmm_small_blockdim_kernelILi1ELi4ELi4ELi16E21rocsparse_complex_numIdEEEv20rocsparse_direction_20rocsparse_operation_iiNS_24const_host_device_scalarIT3_EEPKiS9_PKS6_iiSB_lS7_PS6_l21rocsparse_index_base_b
		.amdhsa_group_segment_fixed_size 1280
		.amdhsa_private_segment_fixed_size 0
		.amdhsa_kernarg_size 120
		.amdhsa_user_sgpr_count 6
		.amdhsa_user_sgpr_private_segment_buffer 1
		.amdhsa_user_sgpr_dispatch_ptr 0
		.amdhsa_user_sgpr_queue_ptr 0
		.amdhsa_user_sgpr_kernarg_segment_ptr 1
		.amdhsa_user_sgpr_dispatch_id 0
		.amdhsa_user_sgpr_flat_scratch_init 0
		.amdhsa_user_sgpr_private_segment_size 0
		.amdhsa_uses_dynamic_stack 0
		.amdhsa_system_sgpr_private_segment_wavefront_offset 0
		.amdhsa_system_sgpr_workgroup_id_x 1
		.amdhsa_system_sgpr_workgroup_id_y 1
		.amdhsa_system_sgpr_workgroup_id_z 0
		.amdhsa_system_sgpr_workgroup_info 0
		.amdhsa_system_vgpr_workitem_id 1
		.amdhsa_next_free_vgpr 38
		.amdhsa_next_free_sgpr 36
		.amdhsa_reserve_vcc 1
		.amdhsa_reserve_flat_scratch 0
		.amdhsa_float_round_mode_32 0
		.amdhsa_float_round_mode_16_64 0
		.amdhsa_float_denorm_mode_32 3
		.amdhsa_float_denorm_mode_16_64 3
		.amdhsa_dx10_clamp 1
		.amdhsa_ieee_mode 1
		.amdhsa_fp16_overflow 0
		.amdhsa_exception_fp_ieee_invalid_op 0
		.amdhsa_exception_fp_denorm_src 0
		.amdhsa_exception_fp_ieee_div_zero 0
		.amdhsa_exception_fp_ieee_overflow 0
		.amdhsa_exception_fp_ieee_underflow 0
		.amdhsa_exception_fp_ieee_inexact 0
		.amdhsa_exception_int_div_zero 0
	.end_amdhsa_kernel
	.section	.text._ZN9rocsparseL29gebsrmm_small_blockdim_kernelILi1ELi4ELi4ELi16E21rocsparse_complex_numIdEEEv20rocsparse_direction_20rocsparse_operation_iiNS_24const_host_device_scalarIT3_EEPKiS9_PKS6_iiSB_lS7_PS6_l21rocsparse_index_base_b,"axG",@progbits,_ZN9rocsparseL29gebsrmm_small_blockdim_kernelILi1ELi4ELi4ELi16E21rocsparse_complex_numIdEEEv20rocsparse_direction_20rocsparse_operation_iiNS_24const_host_device_scalarIT3_EEPKiS9_PKS6_iiSB_lS7_PS6_l21rocsparse_index_base_b,comdat
.Lfunc_end38:
	.size	_ZN9rocsparseL29gebsrmm_small_blockdim_kernelILi1ELi4ELi4ELi16E21rocsparse_complex_numIdEEEv20rocsparse_direction_20rocsparse_operation_iiNS_24const_host_device_scalarIT3_EEPKiS9_PKS6_iiSB_lS7_PS6_l21rocsparse_index_base_b, .Lfunc_end38-_ZN9rocsparseL29gebsrmm_small_blockdim_kernelILi1ELi4ELi4ELi16E21rocsparse_complex_numIdEEEv20rocsparse_direction_20rocsparse_operation_iiNS_24const_host_device_scalarIT3_EEPKiS9_PKS6_iiSB_lS7_PS6_l21rocsparse_index_base_b
                                        ; -- End function
	.set _ZN9rocsparseL29gebsrmm_small_blockdim_kernelILi1ELi4ELi4ELi16E21rocsparse_complex_numIdEEEv20rocsparse_direction_20rocsparse_operation_iiNS_24const_host_device_scalarIT3_EEPKiS9_PKS6_iiSB_lS7_PS6_l21rocsparse_index_base_b.num_vgpr, 38
	.set _ZN9rocsparseL29gebsrmm_small_blockdim_kernelILi1ELi4ELi4ELi16E21rocsparse_complex_numIdEEEv20rocsparse_direction_20rocsparse_operation_iiNS_24const_host_device_scalarIT3_EEPKiS9_PKS6_iiSB_lS7_PS6_l21rocsparse_index_base_b.num_agpr, 0
	.set _ZN9rocsparseL29gebsrmm_small_blockdim_kernelILi1ELi4ELi4ELi16E21rocsparse_complex_numIdEEEv20rocsparse_direction_20rocsparse_operation_iiNS_24const_host_device_scalarIT3_EEPKiS9_PKS6_iiSB_lS7_PS6_l21rocsparse_index_base_b.numbered_sgpr, 36
	.set _ZN9rocsparseL29gebsrmm_small_blockdim_kernelILi1ELi4ELi4ELi16E21rocsparse_complex_numIdEEEv20rocsparse_direction_20rocsparse_operation_iiNS_24const_host_device_scalarIT3_EEPKiS9_PKS6_iiSB_lS7_PS6_l21rocsparse_index_base_b.num_named_barrier, 0
	.set _ZN9rocsparseL29gebsrmm_small_blockdim_kernelILi1ELi4ELi4ELi16E21rocsparse_complex_numIdEEEv20rocsparse_direction_20rocsparse_operation_iiNS_24const_host_device_scalarIT3_EEPKiS9_PKS6_iiSB_lS7_PS6_l21rocsparse_index_base_b.private_seg_size, 0
	.set _ZN9rocsparseL29gebsrmm_small_blockdim_kernelILi1ELi4ELi4ELi16E21rocsparse_complex_numIdEEEv20rocsparse_direction_20rocsparse_operation_iiNS_24const_host_device_scalarIT3_EEPKiS9_PKS6_iiSB_lS7_PS6_l21rocsparse_index_base_b.uses_vcc, 1
	.set _ZN9rocsparseL29gebsrmm_small_blockdim_kernelILi1ELi4ELi4ELi16E21rocsparse_complex_numIdEEEv20rocsparse_direction_20rocsparse_operation_iiNS_24const_host_device_scalarIT3_EEPKiS9_PKS6_iiSB_lS7_PS6_l21rocsparse_index_base_b.uses_flat_scratch, 0
	.set _ZN9rocsparseL29gebsrmm_small_blockdim_kernelILi1ELi4ELi4ELi16E21rocsparse_complex_numIdEEEv20rocsparse_direction_20rocsparse_operation_iiNS_24const_host_device_scalarIT3_EEPKiS9_PKS6_iiSB_lS7_PS6_l21rocsparse_index_base_b.has_dyn_sized_stack, 0
	.set _ZN9rocsparseL29gebsrmm_small_blockdim_kernelILi1ELi4ELi4ELi16E21rocsparse_complex_numIdEEEv20rocsparse_direction_20rocsparse_operation_iiNS_24const_host_device_scalarIT3_EEPKiS9_PKS6_iiSB_lS7_PS6_l21rocsparse_index_base_b.has_recursion, 0
	.set _ZN9rocsparseL29gebsrmm_small_blockdim_kernelILi1ELi4ELi4ELi16E21rocsparse_complex_numIdEEEv20rocsparse_direction_20rocsparse_operation_iiNS_24const_host_device_scalarIT3_EEPKiS9_PKS6_iiSB_lS7_PS6_l21rocsparse_index_base_b.has_indirect_call, 0
	.section	.AMDGPU.csdata,"",@progbits
; Kernel info:
; codeLenInByte = 1284
; TotalNumSgprs: 40
; NumVgprs: 38
; ScratchSize: 0
; MemoryBound: 0
; FloatMode: 240
; IeeeMode: 1
; LDSByteSize: 1280 bytes/workgroup (compile time only)
; SGPRBlocks: 4
; VGPRBlocks: 9
; NumSGPRsForWavesPerEU: 40
; NumVGPRsForWavesPerEU: 38
; Occupancy: 6
; WaveLimiterHint : 0
; COMPUTE_PGM_RSRC2:SCRATCH_EN: 0
; COMPUTE_PGM_RSRC2:USER_SGPR: 6
; COMPUTE_PGM_RSRC2:TRAP_HANDLER: 0
; COMPUTE_PGM_RSRC2:TGID_X_EN: 1
; COMPUTE_PGM_RSRC2:TGID_Y_EN: 1
; COMPUTE_PGM_RSRC2:TGID_Z_EN: 0
; COMPUTE_PGM_RSRC2:TIDIG_COMP_CNT: 1
	.section	.text._ZN9rocsparseL29gebsrmm_small_blockdim_kernelILi2ELi1ELi2ELi16E21rocsparse_complex_numIdEEEv20rocsparse_direction_20rocsparse_operation_iiNS_24const_host_device_scalarIT3_EEPKiS9_PKS6_iiSB_lS7_PS6_l21rocsparse_index_base_b,"axG",@progbits,_ZN9rocsparseL29gebsrmm_small_blockdim_kernelILi2ELi1ELi2ELi16E21rocsparse_complex_numIdEEEv20rocsparse_direction_20rocsparse_operation_iiNS_24const_host_device_scalarIT3_EEPKiS9_PKS6_iiSB_lS7_PS6_l21rocsparse_index_base_b,comdat
	.globl	_ZN9rocsparseL29gebsrmm_small_blockdim_kernelILi2ELi1ELi2ELi16E21rocsparse_complex_numIdEEEv20rocsparse_direction_20rocsparse_operation_iiNS_24const_host_device_scalarIT3_EEPKiS9_PKS6_iiSB_lS7_PS6_l21rocsparse_index_base_b ; -- Begin function _ZN9rocsparseL29gebsrmm_small_blockdim_kernelILi2ELi1ELi2ELi16E21rocsparse_complex_numIdEEEv20rocsparse_direction_20rocsparse_operation_iiNS_24const_host_device_scalarIT3_EEPKiS9_PKS6_iiSB_lS7_PS6_l21rocsparse_index_base_b
	.p2align	8
	.type	_ZN9rocsparseL29gebsrmm_small_blockdim_kernelILi2ELi1ELi2ELi16E21rocsparse_complex_numIdEEEv20rocsparse_direction_20rocsparse_operation_iiNS_24const_host_device_scalarIT3_EEPKiS9_PKS6_iiSB_lS7_PS6_l21rocsparse_index_base_b,@function
_ZN9rocsparseL29gebsrmm_small_blockdim_kernelILi2ELi1ELi2ELi16E21rocsparse_complex_numIdEEEv20rocsparse_direction_20rocsparse_operation_iiNS_24const_host_device_scalarIT3_EEPKiS9_PKS6_iiSB_lS7_PS6_l21rocsparse_index_base_b: ; @_ZN9rocsparseL29gebsrmm_small_blockdim_kernelILi2ELi1ELi2ELi16E21rocsparse_complex_numIdEEEv20rocsparse_direction_20rocsparse_operation_iiNS_24const_host_device_scalarIT3_EEPKiS9_PKS6_iiSB_lS7_PS6_l21rocsparse_index_base_b
; %bb.0:
	s_load_dwordx2 s[0:1], s[4:5], 0x10
	s_load_dwordx4 s[8:11], s[4:5], 0x48
	s_load_dwordx2 s[20:21], s[4:5], 0x70
	s_add_u32 s2, s4, 16
	s_addc_u32 s3, s5, 0
	s_add_u32 s12, s4, 0x50
	s_addc_u32 s13, s5, 0
	s_waitcnt lgkmcnt(0)
	s_bitcmp1_b32 s21, 0
	s_cselect_b32 s1, s3, s1
	s_cselect_b32 s0, s2, s0
	v_mov_b32_e32 v2, s0
	v_mov_b32_e32 v3, s1
	flat_load_dwordx4 v[6:9], v[2:3]
	s_cselect_b32 s0, s13, s11
	s_cselect_b32 s1, s12, s10
	v_mov_b32_e32 v2, s1
	v_mov_b32_e32 v3, s0
	flat_load_dwordx4 v[2:5], v[2:3]
	s_waitcnt vmcnt(0) lgkmcnt(0)
	v_cmp_eq_f64_e32 vcc, 0, v[6:7]
	v_cmp_eq_f64_e64 s[0:1], 0, v[8:9]
	s_and_b64 s[10:11], vcc, s[0:1]
	s_mov_b64 s[0:1], -1
	s_and_saveexec_b64 s[2:3], s[10:11]
	s_cbranch_execz .LBB39_2
; %bb.1:
	v_cmp_neq_f64_e32 vcc, 1.0, v[2:3]
	v_cmp_neq_f64_e64 s[0:1], 0, v[4:5]
	s_or_b64 s[0:1], vcc, s[0:1]
	s_orn2_b64 s[0:1], s[0:1], exec
.LBB39_2:
	s_or_b64 exec, exec, s[2:3]
	s_and_saveexec_b64 s[2:3], s[0:1]
	s_cbranch_execz .LBB39_22
; %bb.3:
	s_load_dwordx4 s[16:19], s[4:5], 0x4
	s_mov_b32 s21, 0
	s_mov_b32 s24, 0
	s_waitcnt lgkmcnt(0)
	s_cmp_lt_i32 s6, s17
	s_cselect_b64 s[22:23], -1, 0
	s_cmp_ge_i32 s6, s17
	s_cbranch_scc1 .LBB39_5
; %bb.4:
	s_load_dwordx2 s[2:3], s[4:5], 0x20
	s_mov_b32 s0, s7
	s_ashr_i32 s7, s6, 31
	s_lshl_b64 s[10:11], s[6:7], 2
	s_mov_b32 s7, s0
	s_waitcnt lgkmcnt(0)
	s_add_u32 s0, s2, s10
	s_addc_u32 s1, s3, s11
	s_load_dwordx2 s[2:3], s[0:1], 0x0
	s_waitcnt lgkmcnt(0)
	s_sub_i32 s24, s2, s20
	s_sub_i32 s21, s3, s20
.LBB39_5:
	s_load_dwordx2 s[10:11], s[4:5], 0x60
	v_lshl_add_u32 v14, s7, 4, v1
	v_mov_b32_e32 v16, 0
	v_mov_b32_e32 v18, 0
	v_ashrrev_i32_e32 v15, 31, v14
	v_cmp_gt_i32_e64 s[0:1], s18, v14
	v_mov_b32_e32 v17, 0
	s_cmp_ge_i32 s24, s21
	v_mov_b32_e32 v19, 0
	v_cmp_gt_u32_e64 s[2:3], 2, v0
	s_cbranch_scc1 .LBB39_17
; %bb.6:
	s_load_dwordx4 s[12:15], s[4:5], 0x28
	s_load_dwordx2 s[28:29], s[4:5], 0x40
	v_mul_lo_u32 v17, s9, v14
	v_mul_lo_u32 v18, s8, v15
	v_mad_u64_u32 v[12:13], s[30:31], s8, v14, 0
	v_cmp_ne_u32_e32 vcc, 0, v0
	s_xor_b64 s[18:19], s[0:1], -1
	v_lshlrev_b64 v[10:11], 4, v[14:15]
	s_or_b64 s[18:19], vcc, s[18:19]
	v_cmp_eq_u32_e32 vcc, 0, v1
	s_and_b64 s[26:27], s[2:3], vcc
	s_waitcnt lgkmcnt(0)
	v_mov_b32_e32 v16, s29
	v_add_co_u32_e32 v22, vcc, s28, v10
	v_add3_u32 v13, v13, v18, v17
	v_lshlrev_b32_e32 v10, 1, v1
	v_addc_co_u32_e32 v23, vcc, v16, v11, vcc
	v_add_lshl_u32 v24, v10, v0, 4
	s_cmpk_lg_i32 s16, 0x6f
	v_lshlrev_b64 v[10:11], 4, v[12:13]
	s_cselect_b64 s[16:17], -1, 0
	s_ashr_i32 s25, s24, 31
	v_mov_b32_e32 v12, s29
	v_add_co_u32_e32 v25, vcc, s28, v10
	s_lshl_b64 s[28:29], s[24:25], 2
	v_mov_b32_e32 v10, 0x200
	s_add_u32 s12, s12, s28
	v_mov_b32_e32 v16, 0
	v_mov_b32_e32 v18, 0
	v_addc_co_u32_e32 v26, vcc, v12, v11, vcc
	v_add_u32_e32 v27, 0x200, v24
	v_lshl_or_b32 v28, v0, 4, v10
	v_lshlrev_b32_e32 v1, 5, v1
	s_addc_u32 s13, s13, s29
	v_lshl_add_u32 v20, s24, 1, v0
	v_mov_b32_e32 v17, 0
	v_mov_b32_e32 v19, 0
	;; [unrolled: 1-line block ×3, first 2 shown]
	s_branch .LBB39_8
.LBB39_7:                               ;   in Loop: Header=BB39_8 Depth=1
	s_or_b64 exec, exec, s[28:29]
	s_waitcnt lgkmcnt(0)
	; wave barrier
	ds_read_b128 v[29:32], v28
	ds_read_b128 v[33:36], v1
	s_add_i32 s24, s24, 1
	s_add_u32 s12, s12, 4
	s_addc_u32 s13, s13, 0
	s_cmp_ge_i32 s24, s21
	s_waitcnt lgkmcnt(0)
	v_fma_f64 v[11:12], v[29:30], v[33:34], v[18:19]
	v_fma_f64 v[16:17], v[31:32], v[33:34], v[16:17]
	v_add_u32_e32 v20, 2, v20
	; wave barrier
	v_fma_f64 v[18:19], -v[31:32], v[35:36], v[11:12]
	v_fma_f64 v[16:17], v[29:30], v[35:36], v[16:17]
	s_cbranch_scc1 .LBB39_17
.LBB39_8:                               ; =>This Inner Loop Header: Depth=1
	s_and_saveexec_b64 s[28:29], s[18:19]
	s_xor_b64 s[28:29], exec, s[28:29]
; %bb.9:                                ;   in Loop: Header=BB39_8 Depth=1
	v_mov_b32_e32 v11, v10
	v_mov_b32_e32 v12, v10
	;; [unrolled: 1-line block ×3, first 2 shown]
	ds_write_b128 v24, v[10:13]
; %bb.10:                               ;   in Loop: Header=BB39_8 Depth=1
	s_andn2_saveexec_b64 s[28:29], s[28:29]
	s_cbranch_execz .LBB39_15
; %bb.11:                               ;   in Loop: Header=BB39_8 Depth=1
	s_load_dword s7, s[12:13], 0x0
	s_mov_b64 s[34:35], -1
	s_and_b64 vcc, exec, s[16:17]
	s_waitcnt lgkmcnt(0)
	s_sub_i32 s30, s7, s20
	s_ashr_i32 s31, s30, 31
	s_cbranch_vccz .LBB39_13
; %bb.12:                               ;   in Loop: Header=BB39_8 Depth=1
	s_mul_i32 s7, s8, s31
	s_mul_hi_u32 s25, s8, s30
	s_add_i32 s7, s25, s7
	s_mul_i32 s25, s9, s30
	s_add_i32 s35, s7, s25
	s_mul_i32 s34, s8, s30
	s_lshl_b64 s[34:35], s[34:35], 4
	v_mov_b32_e32 v12, s35
	v_add_co_u32_e32 v11, vcc, s34, v22
	v_addc_co_u32_e32 v12, vcc, v23, v12, vcc
	global_load_dwordx4 v[29:32], v[11:12], off
	s_mov_b64 s[34:35], 0
	s_waitcnt vmcnt(0)
	ds_write2_b64 v24, v[29:30], v[31:32] offset1:1
.LBB39_13:                              ;   in Loop: Header=BB39_8 Depth=1
	s_andn2_b64 vcc, exec, s[34:35]
	s_cbranch_vccnz .LBB39_15
; %bb.14:                               ;   in Loop: Header=BB39_8 Depth=1
	s_lshl_b64 s[30:31], s[30:31], 4
	v_mov_b32_e32 v12, s31
	v_add_co_u32_e32 v11, vcc, s30, v25
	v_addc_co_u32_e32 v12, vcc, v26, v12, vcc
	global_load_dwordx4 v[29:32], v[11:12], off
	s_waitcnt vmcnt(0)
	ds_write2_b64 v24, v[29:30], v[31:32] offset1:1
.LBB39_15:                              ;   in Loop: Header=BB39_8 Depth=1
	s_or_b64 exec, exec, s[28:29]
	s_and_saveexec_b64 s[28:29], s[26:27]
	s_cbranch_execz .LBB39_7
; %bb.16:                               ;   in Loop: Header=BB39_8 Depth=1
	v_ashrrev_i32_e32 v21, 31, v20
	v_lshlrev_b64 v[11:12], 4, v[20:21]
	v_mov_b32_e32 v13, s15
	v_add_co_u32_e32 v11, vcc, s14, v11
	v_addc_co_u32_e32 v12, vcc, v13, v12, vcc
	global_load_dwordx4 v[29:32], v[11:12], off
	s_waitcnt vmcnt(0)
	ds_write2_b64 v27, v[29:30], v[31:32] offset1:1
	s_branch .LBB39_7
.LBB39_17:
	s_and_b64 s[0:1], s[22:23], s[0:1]
	s_and_b64 s[0:1], s[0:1], s[2:3]
	s_and_b64 exec, exec, s[0:1]
	s_cbranch_execz .LBB39_22
; %bb.18:
	v_mul_f64 v[10:11], v[16:17], -v[8:9]
	v_mul_f64 v[12:13], v[6:7], v[16:17]
	s_load_dwordx2 s[2:3], s[4:5], 0x68
	v_cmp_neq_f64_e32 vcc, 0, v[2:3]
	v_cmp_neq_f64_e64 s[0:1], 0, v[4:5]
	v_lshl_add_u32 v0, s6, 1, v0
	s_waitcnt lgkmcnt(0)
	v_mul_lo_u32 v1, s3, v14
	v_fma_f64 v[6:7], v[6:7], v[18:19], v[10:11]
	v_fma_f64 v[8:9], v[8:9], v[18:19], v[12:13]
	v_mul_lo_u32 v16, s2, v15
	v_mad_u64_u32 v[14:15], s[2:3], s2, v14, 0
	s_or_b64 s[0:1], vcc, s[0:1]
	v_add3_u32 v15, v15, v16, v1
	v_lshlrev_b64 v[10:11], 4, v[14:15]
	v_ashrrev_i32_e32 v1, 31, v0
	s_and_saveexec_b64 s[2:3], s[0:1]
	s_xor_b64 s[0:1], exec, s[2:3]
	s_cbranch_execz .LBB39_20
; %bb.19:
	v_mov_b32_e32 v12, s11
	v_add_co_u32_e32 v10, vcc, s10, v10
	v_lshlrev_b64 v[0:1], 4, v[0:1]
	v_addc_co_u32_e32 v11, vcc, v12, v11, vcc
	v_add_co_u32_e32 v14, vcc, v10, v0
	v_addc_co_u32_e32 v15, vcc, v11, v1, vcc
	global_load_dwordx4 v[10:13], v[14:15], off
	s_waitcnt vmcnt(0)
	v_fma_f64 v[0:1], v[2:3], v[10:11], v[6:7]
	v_fma_f64 v[6:7], v[4:5], v[10:11], v[8:9]
                                        ; implicit-def: $vgpr10_vgpr11
	v_fma_f64 v[0:1], -v[4:5], v[12:13], v[0:1]
	v_fma_f64 v[2:3], v[2:3], v[12:13], v[6:7]
                                        ; implicit-def: $vgpr6_vgpr7
	global_store_dwordx4 v[14:15], v[0:3], off
                                        ; implicit-def: $vgpr0
.LBB39_20:
	s_andn2_saveexec_b64 s[0:1], s[0:1]
	s_cbranch_execz .LBB39_22
; %bb.21:
	v_mov_b32_e32 v2, s11
	v_add_co_u32_e32 v3, vcc, s10, v10
	v_lshlrev_b64 v[0:1], 4, v[0:1]
	v_addc_co_u32_e32 v2, vcc, v2, v11, vcc
	v_add_co_u32_e32 v0, vcc, v3, v0
	v_addc_co_u32_e32 v1, vcc, v2, v1, vcc
	global_store_dwordx4 v[0:1], v[6:9], off
.LBB39_22:
	s_endpgm
	.section	.rodata,"a",@progbits
	.p2align	6, 0x0
	.amdhsa_kernel _ZN9rocsparseL29gebsrmm_small_blockdim_kernelILi2ELi1ELi2ELi16E21rocsparse_complex_numIdEEEv20rocsparse_direction_20rocsparse_operation_iiNS_24const_host_device_scalarIT3_EEPKiS9_PKS6_iiSB_lS7_PS6_l21rocsparse_index_base_b
		.amdhsa_group_segment_fixed_size 576
		.amdhsa_private_segment_fixed_size 0
		.amdhsa_kernarg_size 120
		.amdhsa_user_sgpr_count 6
		.amdhsa_user_sgpr_private_segment_buffer 1
		.amdhsa_user_sgpr_dispatch_ptr 0
		.amdhsa_user_sgpr_queue_ptr 0
		.amdhsa_user_sgpr_kernarg_segment_ptr 1
		.amdhsa_user_sgpr_dispatch_id 0
		.amdhsa_user_sgpr_flat_scratch_init 0
		.amdhsa_user_sgpr_private_segment_size 0
		.amdhsa_uses_dynamic_stack 0
		.amdhsa_system_sgpr_private_segment_wavefront_offset 0
		.amdhsa_system_sgpr_workgroup_id_x 1
		.amdhsa_system_sgpr_workgroup_id_y 1
		.amdhsa_system_sgpr_workgroup_id_z 0
		.amdhsa_system_sgpr_workgroup_info 0
		.amdhsa_system_vgpr_workitem_id 1
		.amdhsa_next_free_vgpr 37
		.amdhsa_next_free_sgpr 36
		.amdhsa_reserve_vcc 1
		.amdhsa_reserve_flat_scratch 0
		.amdhsa_float_round_mode_32 0
		.amdhsa_float_round_mode_16_64 0
		.amdhsa_float_denorm_mode_32 3
		.amdhsa_float_denorm_mode_16_64 3
		.amdhsa_dx10_clamp 1
		.amdhsa_ieee_mode 1
		.amdhsa_fp16_overflow 0
		.amdhsa_exception_fp_ieee_invalid_op 0
		.amdhsa_exception_fp_denorm_src 0
		.amdhsa_exception_fp_ieee_div_zero 0
		.amdhsa_exception_fp_ieee_overflow 0
		.amdhsa_exception_fp_ieee_underflow 0
		.amdhsa_exception_fp_ieee_inexact 0
		.amdhsa_exception_int_div_zero 0
	.end_amdhsa_kernel
	.section	.text._ZN9rocsparseL29gebsrmm_small_blockdim_kernelILi2ELi1ELi2ELi16E21rocsparse_complex_numIdEEEv20rocsparse_direction_20rocsparse_operation_iiNS_24const_host_device_scalarIT3_EEPKiS9_PKS6_iiSB_lS7_PS6_l21rocsparse_index_base_b,"axG",@progbits,_ZN9rocsparseL29gebsrmm_small_blockdim_kernelILi2ELi1ELi2ELi16E21rocsparse_complex_numIdEEEv20rocsparse_direction_20rocsparse_operation_iiNS_24const_host_device_scalarIT3_EEPKiS9_PKS6_iiSB_lS7_PS6_l21rocsparse_index_base_b,comdat
.Lfunc_end39:
	.size	_ZN9rocsparseL29gebsrmm_small_blockdim_kernelILi2ELi1ELi2ELi16E21rocsparse_complex_numIdEEEv20rocsparse_direction_20rocsparse_operation_iiNS_24const_host_device_scalarIT3_EEPKiS9_PKS6_iiSB_lS7_PS6_l21rocsparse_index_base_b, .Lfunc_end39-_ZN9rocsparseL29gebsrmm_small_blockdim_kernelILi2ELi1ELi2ELi16E21rocsparse_complex_numIdEEEv20rocsparse_direction_20rocsparse_operation_iiNS_24const_host_device_scalarIT3_EEPKiS9_PKS6_iiSB_lS7_PS6_l21rocsparse_index_base_b
                                        ; -- End function
	.set _ZN9rocsparseL29gebsrmm_small_blockdim_kernelILi2ELi1ELi2ELi16E21rocsparse_complex_numIdEEEv20rocsparse_direction_20rocsparse_operation_iiNS_24const_host_device_scalarIT3_EEPKiS9_PKS6_iiSB_lS7_PS6_l21rocsparse_index_base_b.num_vgpr, 37
	.set _ZN9rocsparseL29gebsrmm_small_blockdim_kernelILi2ELi1ELi2ELi16E21rocsparse_complex_numIdEEEv20rocsparse_direction_20rocsparse_operation_iiNS_24const_host_device_scalarIT3_EEPKiS9_PKS6_iiSB_lS7_PS6_l21rocsparse_index_base_b.num_agpr, 0
	.set _ZN9rocsparseL29gebsrmm_small_blockdim_kernelILi2ELi1ELi2ELi16E21rocsparse_complex_numIdEEEv20rocsparse_direction_20rocsparse_operation_iiNS_24const_host_device_scalarIT3_EEPKiS9_PKS6_iiSB_lS7_PS6_l21rocsparse_index_base_b.numbered_sgpr, 36
	.set _ZN9rocsparseL29gebsrmm_small_blockdim_kernelILi2ELi1ELi2ELi16E21rocsparse_complex_numIdEEEv20rocsparse_direction_20rocsparse_operation_iiNS_24const_host_device_scalarIT3_EEPKiS9_PKS6_iiSB_lS7_PS6_l21rocsparse_index_base_b.num_named_barrier, 0
	.set _ZN9rocsparseL29gebsrmm_small_blockdim_kernelILi2ELi1ELi2ELi16E21rocsparse_complex_numIdEEEv20rocsparse_direction_20rocsparse_operation_iiNS_24const_host_device_scalarIT3_EEPKiS9_PKS6_iiSB_lS7_PS6_l21rocsparse_index_base_b.private_seg_size, 0
	.set _ZN9rocsparseL29gebsrmm_small_blockdim_kernelILi2ELi1ELi2ELi16E21rocsparse_complex_numIdEEEv20rocsparse_direction_20rocsparse_operation_iiNS_24const_host_device_scalarIT3_EEPKiS9_PKS6_iiSB_lS7_PS6_l21rocsparse_index_base_b.uses_vcc, 1
	.set _ZN9rocsparseL29gebsrmm_small_blockdim_kernelILi2ELi1ELi2ELi16E21rocsparse_complex_numIdEEEv20rocsparse_direction_20rocsparse_operation_iiNS_24const_host_device_scalarIT3_EEPKiS9_PKS6_iiSB_lS7_PS6_l21rocsparse_index_base_b.uses_flat_scratch, 0
	.set _ZN9rocsparseL29gebsrmm_small_blockdim_kernelILi2ELi1ELi2ELi16E21rocsparse_complex_numIdEEEv20rocsparse_direction_20rocsparse_operation_iiNS_24const_host_device_scalarIT3_EEPKiS9_PKS6_iiSB_lS7_PS6_l21rocsparse_index_base_b.has_dyn_sized_stack, 0
	.set _ZN9rocsparseL29gebsrmm_small_blockdim_kernelILi2ELi1ELi2ELi16E21rocsparse_complex_numIdEEEv20rocsparse_direction_20rocsparse_operation_iiNS_24const_host_device_scalarIT3_EEPKiS9_PKS6_iiSB_lS7_PS6_l21rocsparse_index_base_b.has_recursion, 0
	.set _ZN9rocsparseL29gebsrmm_small_blockdim_kernelILi2ELi1ELi2ELi16E21rocsparse_complex_numIdEEEv20rocsparse_direction_20rocsparse_operation_iiNS_24const_host_device_scalarIT3_EEPKiS9_PKS6_iiSB_lS7_PS6_l21rocsparse_index_base_b.has_indirect_call, 0
	.section	.AMDGPU.csdata,"",@progbits
; Kernel info:
; codeLenInByte = 1112
; TotalNumSgprs: 40
; NumVgprs: 37
; ScratchSize: 0
; MemoryBound: 0
; FloatMode: 240
; IeeeMode: 1
; LDSByteSize: 576 bytes/workgroup (compile time only)
; SGPRBlocks: 4
; VGPRBlocks: 9
; NumSGPRsForWavesPerEU: 40
; NumVGPRsForWavesPerEU: 37
; Occupancy: 6
; WaveLimiterHint : 0
; COMPUTE_PGM_RSRC2:SCRATCH_EN: 0
; COMPUTE_PGM_RSRC2:USER_SGPR: 6
; COMPUTE_PGM_RSRC2:TRAP_HANDLER: 0
; COMPUTE_PGM_RSRC2:TGID_X_EN: 1
; COMPUTE_PGM_RSRC2:TGID_Y_EN: 1
; COMPUTE_PGM_RSRC2:TGID_Z_EN: 0
; COMPUTE_PGM_RSRC2:TIDIG_COMP_CNT: 1
	.section	.text._ZN9rocsparseL29gebsrmm_small_blockdim_kernelILi2ELi3ELi3ELi16E21rocsparse_complex_numIdEEEv20rocsparse_direction_20rocsparse_operation_iiNS_24const_host_device_scalarIT3_EEPKiS9_PKS6_iiSB_lS7_PS6_l21rocsparse_index_base_b,"axG",@progbits,_ZN9rocsparseL29gebsrmm_small_blockdim_kernelILi2ELi3ELi3ELi16E21rocsparse_complex_numIdEEEv20rocsparse_direction_20rocsparse_operation_iiNS_24const_host_device_scalarIT3_EEPKiS9_PKS6_iiSB_lS7_PS6_l21rocsparse_index_base_b,comdat
	.globl	_ZN9rocsparseL29gebsrmm_small_blockdim_kernelILi2ELi3ELi3ELi16E21rocsparse_complex_numIdEEEv20rocsparse_direction_20rocsparse_operation_iiNS_24const_host_device_scalarIT3_EEPKiS9_PKS6_iiSB_lS7_PS6_l21rocsparse_index_base_b ; -- Begin function _ZN9rocsparseL29gebsrmm_small_blockdim_kernelILi2ELi3ELi3ELi16E21rocsparse_complex_numIdEEEv20rocsparse_direction_20rocsparse_operation_iiNS_24const_host_device_scalarIT3_EEPKiS9_PKS6_iiSB_lS7_PS6_l21rocsparse_index_base_b
	.p2align	8
	.type	_ZN9rocsparseL29gebsrmm_small_blockdim_kernelILi2ELi3ELi3ELi16E21rocsparse_complex_numIdEEEv20rocsparse_direction_20rocsparse_operation_iiNS_24const_host_device_scalarIT3_EEPKiS9_PKS6_iiSB_lS7_PS6_l21rocsparse_index_base_b,@function
_ZN9rocsparseL29gebsrmm_small_blockdim_kernelILi2ELi3ELi3ELi16E21rocsparse_complex_numIdEEEv20rocsparse_direction_20rocsparse_operation_iiNS_24const_host_device_scalarIT3_EEPKiS9_PKS6_iiSB_lS7_PS6_l21rocsparse_index_base_b: ; @_ZN9rocsparseL29gebsrmm_small_blockdim_kernelILi2ELi3ELi3ELi16E21rocsparse_complex_numIdEEEv20rocsparse_direction_20rocsparse_operation_iiNS_24const_host_device_scalarIT3_EEPKiS9_PKS6_iiSB_lS7_PS6_l21rocsparse_index_base_b
; %bb.0:
	s_load_dwordx2 s[0:1], s[4:5], 0x10
	s_load_dwordx4 s[8:11], s[4:5], 0x48
	s_load_dwordx2 s[20:21], s[4:5], 0x70
	s_add_u32 s2, s4, 16
	s_addc_u32 s3, s5, 0
	s_add_u32 s12, s4, 0x50
	s_addc_u32 s13, s5, 0
	s_waitcnt lgkmcnt(0)
	s_bitcmp1_b32 s21, 0
	s_cselect_b32 s1, s3, s1
	s_cselect_b32 s0, s2, s0
	v_mov_b32_e32 v2, s0
	v_mov_b32_e32 v3, s1
	flat_load_dwordx4 v[6:9], v[2:3]
	s_cselect_b32 s0, s13, s11
	s_cselect_b32 s1, s12, s10
	v_mov_b32_e32 v2, s1
	v_mov_b32_e32 v3, s0
	flat_load_dwordx4 v[2:5], v[2:3]
	s_waitcnt vmcnt(0) lgkmcnt(0)
	v_cmp_eq_f64_e32 vcc, 0, v[6:7]
	v_cmp_eq_f64_e64 s[0:1], 0, v[8:9]
	s_and_b64 s[10:11], vcc, s[0:1]
	s_mov_b64 s[0:1], -1
	s_and_saveexec_b64 s[2:3], s[10:11]
	s_cbranch_execz .LBB40_2
; %bb.1:
	v_cmp_neq_f64_e32 vcc, 1.0, v[2:3]
	v_cmp_neq_f64_e64 s[0:1], 0, v[4:5]
	s_or_b64 s[0:1], vcc, s[0:1]
	s_orn2_b64 s[0:1], s[0:1], exec
.LBB40_2:
	s_or_b64 exec, exec, s[2:3]
	s_and_saveexec_b64 s[2:3], s[0:1]
	s_cbranch_execz .LBB40_22
; %bb.3:
	s_load_dwordx4 s[16:19], s[4:5], 0x0
	s_mov_b32 s21, 0
	s_waitcnt lgkmcnt(0)
	s_cmp_lt_i32 s6, s18
	s_cselect_b64 s[22:23], -1, 0
	s_cmp_ge_i32 s6, s18
	s_mov_b32 s18, 0
	s_cbranch_scc1 .LBB40_5
; %bb.4:
	s_load_dwordx2 s[2:3], s[4:5], 0x20
	s_mov_b32 s0, s7
	s_ashr_i32 s7, s6, 31
	s_lshl_b64 s[10:11], s[6:7], 2
	s_mov_b32 s7, s0
	s_waitcnt lgkmcnt(0)
	s_add_u32 s0, s2, s10
	s_addc_u32 s1, s3, s11
	s_load_dwordx2 s[2:3], s[0:1], 0x0
	s_waitcnt lgkmcnt(0)
	s_sub_i32 s18, s2, s20
	s_sub_i32 s21, s3, s20
.LBB40_5:
	s_load_dwordx2 s[10:11], s[4:5], 0x60
	v_lshl_add_u32 v14, s7, 4, v1
	v_mov_b32_e32 v18, 0
	v_mov_b32_e32 v20, 0
	v_ashrrev_i32_e32 v15, 31, v14
	v_cmp_gt_i32_e64 s[0:1], s19, v14
	v_mov_b32_e32 v19, 0
	s_cmp_ge_i32 s18, s21
	v_mov_b32_e32 v21, 0
	v_cmp_gt_u32_e64 s[2:3], 2, v0
	s_cbranch_scc1 .LBB40_17
; %bb.6:
	s_load_dwordx4 s[12:15], s[4:5], 0x28
	s_load_dwordx2 s[30:31], s[4:5], 0x40
	v_mul_lo_u32 v17, s9, v14
	v_mul_lo_u32 v18, s8, v15
	v_mad_u64_u32 v[12:13], s[28:29], s8, v14, 0
	v_cmp_lt_u32_e32 vcc, 2, v0
	s_xor_b64 s[24:25], s[0:1], -1
	v_lshlrev_b64 v[10:11], 4, v[14:15]
	s_or_b64 s[24:25], s[24:25], vcc
	v_cmp_gt_u32_e32 vcc, 3, v1
	s_and_b64 s[26:27], s[2:3], vcc
	s_waitcnt lgkmcnt(0)
	v_mov_b32_e32 v16, s31
	v_add_co_u32_e32 v22, vcc, s30, v10
	v_add3_u32 v13, v13, v18, v17
	v_addc_co_u32_e32 v23, vcc, v16, v11, vcc
	v_lshlrev_b64 v[10:11], 4, v[12:13]
	v_mov_b32_e32 v12, s31
	v_add_co_u32_e32 v10, vcc, s30, v10
	v_addc_co_u32_e32 v11, vcc, v12, v11, vcc
	v_lshlrev_b32_e32 v12, 4, v0
	s_cmpk_lg_i32 s17, 0x6f
	v_add_co_u32_e32 v25, vcc, v10, v12
	s_cselect_b64 s[28:29], -1, 0
	v_addc_co_u32_e32 v26, vcc, 0, v11, vcc
	s_cmp_eq_u32 s16, 0
	v_mad_u32_u24 v17, v1, 3, v0
	s_cselect_b64 vcc, -1, 0
	s_ashr_i32 s19, s18, 31
	v_sub_u32_e32 v10, v17, v1
	v_mad_u32_u24 v11, v0, 3, v1
	s_lshl_b64 s[16:17], s[18:19], 2
	v_mul_u32_u24_e32 v16, 3, v1
	v_cndmask_b32_e32 v10, v10, v11, vcc
	s_add_u32 s12, s12, s16
	v_lshlrev_b32_e32 v24, 4, v17
	v_lshlrev_b32_e32 v28, 4, v16
	s_addc_u32 s13, s13, s17
	v_mad_u64_u32 v[16:17], s[16:17], s18, 6, v[10:11]
	v_mov_b32_e32 v18, 0
	v_mov_b32_e32 v20, 0
	v_add_u32_e32 v27, 0x300, v24
	v_add_u32_e32 v1, 0x300, v12
	v_mov_b32_e32 v19, 0
	v_mov_b32_e32 v21, 0
	;; [unrolled: 1-line block ×3, first 2 shown]
	s_branch .LBB40_8
.LBB40_7:                               ;   in Loop: Header=BB40_8 Depth=1
	s_or_b64 exec, exec, s[16:17]
	s_waitcnt lgkmcnt(0)
	; wave barrier
	ds_read_b128 v[29:32], v28
	ds_read_b128 v[33:36], v1
	s_add_i32 s18, s18, 1
	s_add_u32 s12, s12, 4
	s_addc_u32 s13, s13, 0
	s_cmp_ge_i32 s18, s21
	s_waitcnt lgkmcnt(0)
	v_fma_f64 v[11:12], v[33:34], v[29:30], v[20:21]
	v_fma_f64 v[17:18], v[35:36], v[29:30], v[18:19]
	v_add_u32_e32 v16, 6, v16
	v_fma_f64 v[11:12], -v[35:36], v[31:32], v[11:12]
	v_fma_f64 v[33:34], v[33:34], v[31:32], v[17:18]
	ds_read_b128 v[17:20], v1 offset:48
	ds_read_b128 v[29:32], v28 offset:16
	s_waitcnt lgkmcnt(0)
	v_fma_f64 v[11:12], v[17:18], v[29:30], v[11:12]
	v_fma_f64 v[29:30], v[19:20], v[29:30], v[33:34]
	v_fma_f64 v[11:12], -v[19:20], v[31:32], v[11:12]
	v_fma_f64 v[33:34], v[17:18], v[31:32], v[29:30]
	ds_read_b128 v[17:20], v1 offset:96
	ds_read_b128 v[29:32], v28 offset:32
	s_waitcnt lgkmcnt(0)
	; wave barrier
	v_fma_f64 v[11:12], v[17:18], v[29:30], v[11:12]
	v_fma_f64 v[29:30], v[19:20], v[29:30], v[33:34]
	v_fma_f64 v[20:21], -v[19:20], v[31:32], v[11:12]
	v_fma_f64 v[18:19], v[17:18], v[31:32], v[29:30]
	s_cbranch_scc1 .LBB40_17
.LBB40_8:                               ; =>This Inner Loop Header: Depth=1
	s_and_saveexec_b64 s[16:17], s[24:25]
	s_xor_b64 s[16:17], exec, s[16:17]
; %bb.9:                                ;   in Loop: Header=BB40_8 Depth=1
	v_mov_b32_e32 v11, v10
	v_mov_b32_e32 v12, v10
	;; [unrolled: 1-line block ×3, first 2 shown]
	ds_write_b128 v24, v[10:13]
; %bb.10:                               ;   in Loop: Header=BB40_8 Depth=1
	s_andn2_saveexec_b64 s[16:17], s[16:17]
	s_cbranch_execz .LBB40_15
; %bb.11:                               ;   in Loop: Header=BB40_8 Depth=1
	s_load_dword s7, s[12:13], 0x0
	s_mov_b64 s[34:35], -1
	s_and_b64 vcc, exec, s[28:29]
	s_waitcnt lgkmcnt(0)
	s_sub_i32 s7, s7, s20
	s_mul_i32 s30, s7, 3
	s_cbranch_vccz .LBB40_13
; %bb.12:                               ;   in Loop: Header=BB40_8 Depth=1
	v_add_u32_e32 v11, s30, v0
	v_ashrrev_i32_e32 v13, 31, v11
	v_mul_lo_u32 v17, s9, v11
	v_mad_u64_u32 v[11:12], s[34:35], s8, v11, 0
	v_mul_lo_u32 v13, s8, v13
	s_mov_b64 s[34:35], 0
	v_add3_u32 v12, v12, v13, v17
	v_lshlrev_b64 v[11:12], 4, v[11:12]
	v_add_co_u32_e32 v11, vcc, v22, v11
	v_addc_co_u32_e32 v12, vcc, v23, v12, vcc
	global_load_dwordx4 v[29:32], v[11:12], off
	s_waitcnt vmcnt(0)
	ds_write2_b64 v24, v[29:30], v[31:32] offset1:1
.LBB40_13:                              ;   in Loop: Header=BB40_8 Depth=1
	s_andn2_b64 vcc, exec, s[34:35]
	s_cbranch_vccnz .LBB40_15
; %bb.14:                               ;   in Loop: Header=BB40_8 Depth=1
	s_ashr_i32 s31, s30, 31
	s_lshl_b64 s[30:31], s[30:31], 4
	v_mov_b32_e32 v12, s31
	v_add_co_u32_e32 v11, vcc, s30, v25
	v_addc_co_u32_e32 v12, vcc, v26, v12, vcc
	global_load_dwordx4 v[29:32], v[11:12], off
	s_waitcnt vmcnt(0)
	ds_write2_b64 v24, v[29:30], v[31:32] offset1:1
.LBB40_15:                              ;   in Loop: Header=BB40_8 Depth=1
	s_or_b64 exec, exec, s[16:17]
	s_and_saveexec_b64 s[16:17], s[26:27]
	s_cbranch_execz .LBB40_7
; %bb.16:                               ;   in Loop: Header=BB40_8 Depth=1
	v_ashrrev_i32_e32 v17, 31, v16
	v_lshlrev_b64 v[11:12], 4, v[16:17]
	v_mov_b32_e32 v13, s15
	v_add_co_u32_e32 v11, vcc, s14, v11
	v_addc_co_u32_e32 v12, vcc, v13, v12, vcc
	global_load_dwordx4 v[29:32], v[11:12], off
	s_waitcnt vmcnt(0)
	ds_write2_b64 v27, v[29:30], v[31:32] offset1:1
	s_branch .LBB40_7
.LBB40_17:
	s_and_b64 s[0:1], s[22:23], s[0:1]
	s_and_b64 s[0:1], s[0:1], s[2:3]
	s_and_b64 exec, exec, s[0:1]
	s_cbranch_execz .LBB40_22
; %bb.18:
	v_mul_f64 v[10:11], v[18:19], -v[8:9]
	v_mul_f64 v[12:13], v[6:7], v[18:19]
	s_load_dwordx2 s[2:3], s[4:5], 0x68
	v_cmp_neq_f64_e32 vcc, 0, v[2:3]
	v_cmp_neq_f64_e64 s[0:1], 0, v[4:5]
	v_lshl_add_u32 v0, s6, 1, v0
	s_waitcnt lgkmcnt(0)
	v_mul_lo_u32 v1, s3, v14
	v_fma_f64 v[6:7], v[6:7], v[20:21], v[10:11]
	v_fma_f64 v[8:9], v[8:9], v[20:21], v[12:13]
	v_mul_lo_u32 v16, s2, v15
	v_mad_u64_u32 v[14:15], s[2:3], s2, v14, 0
	s_or_b64 s[0:1], vcc, s[0:1]
	v_add3_u32 v15, v15, v16, v1
	v_lshlrev_b64 v[10:11], 4, v[14:15]
	v_ashrrev_i32_e32 v1, 31, v0
	s_and_saveexec_b64 s[2:3], s[0:1]
	s_xor_b64 s[0:1], exec, s[2:3]
	s_cbranch_execz .LBB40_20
; %bb.19:
	v_mov_b32_e32 v12, s11
	v_add_co_u32_e32 v10, vcc, s10, v10
	v_lshlrev_b64 v[0:1], 4, v[0:1]
	v_addc_co_u32_e32 v11, vcc, v12, v11, vcc
	v_add_co_u32_e32 v14, vcc, v10, v0
	v_addc_co_u32_e32 v15, vcc, v11, v1, vcc
	global_load_dwordx4 v[10:13], v[14:15], off
	s_waitcnt vmcnt(0)
	v_fma_f64 v[0:1], v[2:3], v[10:11], v[6:7]
	v_fma_f64 v[6:7], v[4:5], v[10:11], v[8:9]
                                        ; implicit-def: $vgpr10_vgpr11
	v_fma_f64 v[0:1], -v[4:5], v[12:13], v[0:1]
	v_fma_f64 v[2:3], v[2:3], v[12:13], v[6:7]
                                        ; implicit-def: $vgpr6_vgpr7
	global_store_dwordx4 v[14:15], v[0:3], off
                                        ; implicit-def: $vgpr0
.LBB40_20:
	s_andn2_saveexec_b64 s[0:1], s[0:1]
	s_cbranch_execz .LBB40_22
; %bb.21:
	v_mov_b32_e32 v2, s11
	v_add_co_u32_e32 v3, vcc, s10, v10
	v_lshlrev_b64 v[0:1], 4, v[0:1]
	v_addc_co_u32_e32 v2, vcc, v2, v11, vcc
	v_add_co_u32_e32 v0, vcc, v3, v0
	v_addc_co_u32_e32 v1, vcc, v2, v1, vcc
	global_store_dwordx4 v[0:1], v[6:9], off
.LBB40_22:
	s_endpgm
	.section	.rodata,"a",@progbits
	.p2align	6, 0x0
	.amdhsa_kernel _ZN9rocsparseL29gebsrmm_small_blockdim_kernelILi2ELi3ELi3ELi16E21rocsparse_complex_numIdEEEv20rocsparse_direction_20rocsparse_operation_iiNS_24const_host_device_scalarIT3_EEPKiS9_PKS6_iiSB_lS7_PS6_l21rocsparse_index_base_b
		.amdhsa_group_segment_fixed_size 912
		.amdhsa_private_segment_fixed_size 0
		.amdhsa_kernarg_size 120
		.amdhsa_user_sgpr_count 6
		.amdhsa_user_sgpr_private_segment_buffer 1
		.amdhsa_user_sgpr_dispatch_ptr 0
		.amdhsa_user_sgpr_queue_ptr 0
		.amdhsa_user_sgpr_kernarg_segment_ptr 1
		.amdhsa_user_sgpr_dispatch_id 0
		.amdhsa_user_sgpr_flat_scratch_init 0
		.amdhsa_user_sgpr_private_segment_size 0
		.amdhsa_uses_dynamic_stack 0
		.amdhsa_system_sgpr_private_segment_wavefront_offset 0
		.amdhsa_system_sgpr_workgroup_id_x 1
		.amdhsa_system_sgpr_workgroup_id_y 1
		.amdhsa_system_sgpr_workgroup_id_z 0
		.amdhsa_system_sgpr_workgroup_info 0
		.amdhsa_system_vgpr_workitem_id 1
		.amdhsa_next_free_vgpr 37
		.amdhsa_next_free_sgpr 36
		.amdhsa_reserve_vcc 1
		.amdhsa_reserve_flat_scratch 0
		.amdhsa_float_round_mode_32 0
		.amdhsa_float_round_mode_16_64 0
		.amdhsa_float_denorm_mode_32 3
		.amdhsa_float_denorm_mode_16_64 3
		.amdhsa_dx10_clamp 1
		.amdhsa_ieee_mode 1
		.amdhsa_fp16_overflow 0
		.amdhsa_exception_fp_ieee_invalid_op 0
		.amdhsa_exception_fp_denorm_src 0
		.amdhsa_exception_fp_ieee_div_zero 0
		.amdhsa_exception_fp_ieee_overflow 0
		.amdhsa_exception_fp_ieee_underflow 0
		.amdhsa_exception_fp_ieee_inexact 0
		.amdhsa_exception_int_div_zero 0
	.end_amdhsa_kernel
	.section	.text._ZN9rocsparseL29gebsrmm_small_blockdim_kernelILi2ELi3ELi3ELi16E21rocsparse_complex_numIdEEEv20rocsparse_direction_20rocsparse_operation_iiNS_24const_host_device_scalarIT3_EEPKiS9_PKS6_iiSB_lS7_PS6_l21rocsparse_index_base_b,"axG",@progbits,_ZN9rocsparseL29gebsrmm_small_blockdim_kernelILi2ELi3ELi3ELi16E21rocsparse_complex_numIdEEEv20rocsparse_direction_20rocsparse_operation_iiNS_24const_host_device_scalarIT3_EEPKiS9_PKS6_iiSB_lS7_PS6_l21rocsparse_index_base_b,comdat
.Lfunc_end40:
	.size	_ZN9rocsparseL29gebsrmm_small_blockdim_kernelILi2ELi3ELi3ELi16E21rocsparse_complex_numIdEEEv20rocsparse_direction_20rocsparse_operation_iiNS_24const_host_device_scalarIT3_EEPKiS9_PKS6_iiSB_lS7_PS6_l21rocsparse_index_base_b, .Lfunc_end40-_ZN9rocsparseL29gebsrmm_small_blockdim_kernelILi2ELi3ELi3ELi16E21rocsparse_complex_numIdEEEv20rocsparse_direction_20rocsparse_operation_iiNS_24const_host_device_scalarIT3_EEPKiS9_PKS6_iiSB_lS7_PS6_l21rocsparse_index_base_b
                                        ; -- End function
	.set _ZN9rocsparseL29gebsrmm_small_blockdim_kernelILi2ELi3ELi3ELi16E21rocsparse_complex_numIdEEEv20rocsparse_direction_20rocsparse_operation_iiNS_24const_host_device_scalarIT3_EEPKiS9_PKS6_iiSB_lS7_PS6_l21rocsparse_index_base_b.num_vgpr, 37
	.set _ZN9rocsparseL29gebsrmm_small_blockdim_kernelILi2ELi3ELi3ELi16E21rocsparse_complex_numIdEEEv20rocsparse_direction_20rocsparse_operation_iiNS_24const_host_device_scalarIT3_EEPKiS9_PKS6_iiSB_lS7_PS6_l21rocsparse_index_base_b.num_agpr, 0
	.set _ZN9rocsparseL29gebsrmm_small_blockdim_kernelILi2ELi3ELi3ELi16E21rocsparse_complex_numIdEEEv20rocsparse_direction_20rocsparse_operation_iiNS_24const_host_device_scalarIT3_EEPKiS9_PKS6_iiSB_lS7_PS6_l21rocsparse_index_base_b.numbered_sgpr, 36
	.set _ZN9rocsparseL29gebsrmm_small_blockdim_kernelILi2ELi3ELi3ELi16E21rocsparse_complex_numIdEEEv20rocsparse_direction_20rocsparse_operation_iiNS_24const_host_device_scalarIT3_EEPKiS9_PKS6_iiSB_lS7_PS6_l21rocsparse_index_base_b.num_named_barrier, 0
	.set _ZN9rocsparseL29gebsrmm_small_blockdim_kernelILi2ELi3ELi3ELi16E21rocsparse_complex_numIdEEEv20rocsparse_direction_20rocsparse_operation_iiNS_24const_host_device_scalarIT3_EEPKiS9_PKS6_iiSB_lS7_PS6_l21rocsparse_index_base_b.private_seg_size, 0
	.set _ZN9rocsparseL29gebsrmm_small_blockdim_kernelILi2ELi3ELi3ELi16E21rocsparse_complex_numIdEEEv20rocsparse_direction_20rocsparse_operation_iiNS_24const_host_device_scalarIT3_EEPKiS9_PKS6_iiSB_lS7_PS6_l21rocsparse_index_base_b.uses_vcc, 1
	.set _ZN9rocsparseL29gebsrmm_small_blockdim_kernelILi2ELi3ELi3ELi16E21rocsparse_complex_numIdEEEv20rocsparse_direction_20rocsparse_operation_iiNS_24const_host_device_scalarIT3_EEPKiS9_PKS6_iiSB_lS7_PS6_l21rocsparse_index_base_b.uses_flat_scratch, 0
	.set _ZN9rocsparseL29gebsrmm_small_blockdim_kernelILi2ELi3ELi3ELi16E21rocsparse_complex_numIdEEEv20rocsparse_direction_20rocsparse_operation_iiNS_24const_host_device_scalarIT3_EEPKiS9_PKS6_iiSB_lS7_PS6_l21rocsparse_index_base_b.has_dyn_sized_stack, 0
	.set _ZN9rocsparseL29gebsrmm_small_blockdim_kernelILi2ELi3ELi3ELi16E21rocsparse_complex_numIdEEEv20rocsparse_direction_20rocsparse_operation_iiNS_24const_host_device_scalarIT3_EEPKiS9_PKS6_iiSB_lS7_PS6_l21rocsparse_index_base_b.has_recursion, 0
	.set _ZN9rocsparseL29gebsrmm_small_blockdim_kernelILi2ELi3ELi3ELi16E21rocsparse_complex_numIdEEEv20rocsparse_direction_20rocsparse_operation_iiNS_24const_host_device_scalarIT3_EEPKiS9_PKS6_iiSB_lS7_PS6_l21rocsparse_index_base_b.has_indirect_call, 0
	.section	.AMDGPU.csdata,"",@progbits
; Kernel info:
; codeLenInByte = 1268
; TotalNumSgprs: 40
; NumVgprs: 37
; ScratchSize: 0
; MemoryBound: 0
; FloatMode: 240
; IeeeMode: 1
; LDSByteSize: 912 bytes/workgroup (compile time only)
; SGPRBlocks: 4
; VGPRBlocks: 9
; NumSGPRsForWavesPerEU: 40
; NumVGPRsForWavesPerEU: 37
; Occupancy: 6
; WaveLimiterHint : 0
; COMPUTE_PGM_RSRC2:SCRATCH_EN: 0
; COMPUTE_PGM_RSRC2:USER_SGPR: 6
; COMPUTE_PGM_RSRC2:TRAP_HANDLER: 0
; COMPUTE_PGM_RSRC2:TGID_X_EN: 1
; COMPUTE_PGM_RSRC2:TGID_Y_EN: 1
; COMPUTE_PGM_RSRC2:TGID_Z_EN: 0
; COMPUTE_PGM_RSRC2:TIDIG_COMP_CNT: 1
	.section	.text._ZN9rocsparseL29gebsrmm_small_blockdim_kernelILi2ELi4ELi4ELi16E21rocsparse_complex_numIdEEEv20rocsparse_direction_20rocsparse_operation_iiNS_24const_host_device_scalarIT3_EEPKiS9_PKS6_iiSB_lS7_PS6_l21rocsparse_index_base_b,"axG",@progbits,_ZN9rocsparseL29gebsrmm_small_blockdim_kernelILi2ELi4ELi4ELi16E21rocsparse_complex_numIdEEEv20rocsparse_direction_20rocsparse_operation_iiNS_24const_host_device_scalarIT3_EEPKiS9_PKS6_iiSB_lS7_PS6_l21rocsparse_index_base_b,comdat
	.globl	_ZN9rocsparseL29gebsrmm_small_blockdim_kernelILi2ELi4ELi4ELi16E21rocsparse_complex_numIdEEEv20rocsparse_direction_20rocsparse_operation_iiNS_24const_host_device_scalarIT3_EEPKiS9_PKS6_iiSB_lS7_PS6_l21rocsparse_index_base_b ; -- Begin function _ZN9rocsparseL29gebsrmm_small_blockdim_kernelILi2ELi4ELi4ELi16E21rocsparse_complex_numIdEEEv20rocsparse_direction_20rocsparse_operation_iiNS_24const_host_device_scalarIT3_EEPKiS9_PKS6_iiSB_lS7_PS6_l21rocsparse_index_base_b
	.p2align	8
	.type	_ZN9rocsparseL29gebsrmm_small_blockdim_kernelILi2ELi4ELi4ELi16E21rocsparse_complex_numIdEEEv20rocsparse_direction_20rocsparse_operation_iiNS_24const_host_device_scalarIT3_EEPKiS9_PKS6_iiSB_lS7_PS6_l21rocsparse_index_base_b,@function
_ZN9rocsparseL29gebsrmm_small_blockdim_kernelILi2ELi4ELi4ELi16E21rocsparse_complex_numIdEEEv20rocsparse_direction_20rocsparse_operation_iiNS_24const_host_device_scalarIT3_EEPKiS9_PKS6_iiSB_lS7_PS6_l21rocsparse_index_base_b: ; @_ZN9rocsparseL29gebsrmm_small_blockdim_kernelILi2ELi4ELi4ELi16E21rocsparse_complex_numIdEEEv20rocsparse_direction_20rocsparse_operation_iiNS_24const_host_device_scalarIT3_EEPKiS9_PKS6_iiSB_lS7_PS6_l21rocsparse_index_base_b
; %bb.0:
	s_load_dwordx2 s[0:1], s[4:5], 0x10
	s_load_dwordx4 s[8:11], s[4:5], 0x48
	s_load_dwordx2 s[20:21], s[4:5], 0x70
	s_add_u32 s2, s4, 16
	s_addc_u32 s3, s5, 0
	s_add_u32 s12, s4, 0x50
	s_addc_u32 s13, s5, 0
	s_waitcnt lgkmcnt(0)
	s_bitcmp1_b32 s21, 0
	s_cselect_b32 s1, s3, s1
	s_cselect_b32 s0, s2, s0
	v_mov_b32_e32 v2, s0
	v_mov_b32_e32 v3, s1
	flat_load_dwordx4 v[6:9], v[2:3]
	s_cselect_b32 s0, s13, s11
	s_cselect_b32 s1, s12, s10
	v_mov_b32_e32 v2, s1
	v_mov_b32_e32 v3, s0
	flat_load_dwordx4 v[2:5], v[2:3]
	s_waitcnt vmcnt(0) lgkmcnt(0)
	v_cmp_eq_f64_e32 vcc, 0, v[6:7]
	v_cmp_eq_f64_e64 s[0:1], 0, v[8:9]
	s_and_b64 s[10:11], vcc, s[0:1]
	s_mov_b64 s[0:1], -1
	s_and_saveexec_b64 s[2:3], s[10:11]
	s_cbranch_execz .LBB41_2
; %bb.1:
	v_cmp_neq_f64_e32 vcc, 1.0, v[2:3]
	v_cmp_neq_f64_e64 s[0:1], 0, v[4:5]
	s_or_b64 s[0:1], vcc, s[0:1]
	s_orn2_b64 s[0:1], s[0:1], exec
.LBB41_2:
	s_or_b64 exec, exec, s[2:3]
	s_and_saveexec_b64 s[2:3], s[0:1]
	s_cbranch_execz .LBB41_22
; %bb.3:
	s_load_dwordx4 s[16:19], s[4:5], 0x0
	s_mov_b32 s21, 0
	s_waitcnt lgkmcnt(0)
	s_cmp_lt_i32 s6, s18
	s_cselect_b64 s[22:23], -1, 0
	s_cmp_ge_i32 s6, s18
	s_mov_b32 s18, 0
	s_cbranch_scc1 .LBB41_5
; %bb.4:
	s_load_dwordx2 s[2:3], s[4:5], 0x20
	s_mov_b32 s0, s7
	s_ashr_i32 s7, s6, 31
	s_lshl_b64 s[10:11], s[6:7], 2
	s_mov_b32 s7, s0
	s_waitcnt lgkmcnt(0)
	s_add_u32 s0, s2, s10
	s_addc_u32 s1, s3, s11
	s_load_dwordx2 s[2:3], s[0:1], 0x0
	s_waitcnt lgkmcnt(0)
	s_sub_i32 s18, s2, s20
	s_sub_i32 s21, s3, s20
.LBB41_5:
	s_load_dwordx2 s[10:11], s[4:5], 0x60
	v_lshl_add_u32 v14, s7, 4, v1
	v_mov_b32_e32 v18, 0
	v_mov_b32_e32 v20, 0
	v_ashrrev_i32_e32 v15, 31, v14
	v_cmp_gt_i32_e64 s[0:1], s19, v14
	v_mov_b32_e32 v19, 0
	s_cmp_ge_i32 s18, s21
	v_mov_b32_e32 v21, 0
	v_cmp_gt_u32_e64 s[2:3], 2, v0
	s_cbranch_scc1 .LBB41_17
; %bb.6:
	s_load_dwordx4 s[12:15], s[4:5], 0x28
	s_load_dwordx2 s[30:31], s[4:5], 0x40
	v_mul_lo_u32 v17, s9, v14
	v_mul_lo_u32 v18, s8, v15
	v_mad_u64_u32 v[12:13], s[28:29], s8, v14, 0
	v_cmp_lt_u32_e32 vcc, 3, v0
	s_xor_b64 s[24:25], s[0:1], -1
	v_lshlrev_b64 v[10:11], 4, v[14:15]
	s_or_b64 s[24:25], s[24:25], vcc
	v_cmp_gt_u32_e32 vcc, 4, v1
	s_and_b64 s[26:27], s[2:3], vcc
	s_waitcnt lgkmcnt(0)
	v_mov_b32_e32 v16, s31
	v_add_co_u32_e32 v22, vcc, s30, v10
	v_add3_u32 v13, v13, v18, v17
	v_addc_co_u32_e32 v23, vcc, v16, v11, vcc
	v_lshlrev_b64 v[10:11], 4, v[12:13]
	v_mov_b32_e32 v12, s31
	v_add_co_u32_e32 v10, vcc, s30, v10
	v_addc_co_u32_e32 v11, vcc, v12, v11, vcc
	v_lshlrev_b32_e32 v12, 4, v0
	s_cmpk_lg_i32 s17, 0x6f
	v_add_co_u32_e32 v25, vcc, v10, v12
	s_cselect_b64 s[28:29], -1, 0
	v_addc_co_u32_e32 v26, vcc, 0, v11, vcc
	s_cmp_eq_u32 s16, 0
	v_lshl_add_u32 v16, v1, 2, v0
	v_lshlrev_b32_e32 v10, 1, v1
	s_cselect_b64 vcc, -1, 0
	s_ashr_i32 s19, s18, 31
	v_sub_u32_e32 v10, v16, v10
	v_lshl_add_u32 v11, v0, 2, v1
	s_lshl_b64 s[16:17], s[18:19], 2
	v_lshlrev_b32_e32 v24, 4, v16
	v_cndmask_b32_e32 v10, v10, v11, vcc
	s_add_u32 s12, s12, s16
	v_mov_b32_e32 v18, 0
	v_mov_b32_e32 v20, 0
	v_add_u32_e32 v27, 0x400, v24
	v_add_u32_e32 v28, 0x400, v12
	v_lshlrev_b32_e32 v1, 6, v1
	s_addc_u32 s13, s13, s17
	v_lshl_add_u32 v16, s18, 3, v10
	v_mov_b32_e32 v19, 0
	v_mov_b32_e32 v21, 0
	;; [unrolled: 1-line block ×3, first 2 shown]
	s_branch .LBB41_8
.LBB41_7:                               ;   in Loop: Header=BB41_8 Depth=1
	s_or_b64 exec, exec, s[16:17]
	s_waitcnt lgkmcnt(0)
	; wave barrier
	ds_read_b128 v[29:32], v28
	ds_read_b128 v[33:36], v1
	s_add_i32 s18, s18, 1
	s_add_u32 s12, s12, 4
	s_addc_u32 s13, s13, 0
	s_cmp_ge_i32 s18, s21
	s_waitcnt lgkmcnt(0)
	v_fma_f64 v[11:12], v[29:30], v[33:34], v[20:21]
	v_fma_f64 v[17:18], v[31:32], v[33:34], v[18:19]
	v_add_u32_e32 v16, 8, v16
	v_fma_f64 v[11:12], -v[31:32], v[35:36], v[11:12]
	v_fma_f64 v[33:34], v[29:30], v[35:36], v[17:18]
	ds_read_b128 v[17:20], v1 offset:16
	ds_read_b128 v[29:32], v28 offset:64
	s_waitcnt lgkmcnt(0)
	v_fma_f64 v[11:12], v[29:30], v[17:18], v[11:12]
	v_fma_f64 v[17:18], v[31:32], v[17:18], v[33:34]
	v_fma_f64 v[11:12], -v[31:32], v[19:20], v[11:12]
	v_fma_f64 v[33:34], v[29:30], v[19:20], v[17:18]
	ds_read_b128 v[17:20], v28 offset:128
	ds_read_b128 v[29:32], v1 offset:32
	s_waitcnt lgkmcnt(0)
	v_fma_f64 v[11:12], v[17:18], v[29:30], v[11:12]
	v_fma_f64 v[29:30], v[19:20], v[29:30], v[33:34]
	v_fma_f64 v[11:12], -v[19:20], v[31:32], v[11:12]
	v_fma_f64 v[33:34], v[17:18], v[31:32], v[29:30]
	ds_read_b128 v[29:32], v1 offset:48
	ds_read_b128 v[17:20], v28 offset:192
	s_waitcnt lgkmcnt(0)
	; wave barrier
	v_fma_f64 v[11:12], v[17:18], v[29:30], v[11:12]
	v_fma_f64 v[29:30], v[19:20], v[29:30], v[33:34]
	v_fma_f64 v[20:21], -v[19:20], v[31:32], v[11:12]
	v_fma_f64 v[18:19], v[17:18], v[31:32], v[29:30]
	s_cbranch_scc1 .LBB41_17
.LBB41_8:                               ; =>This Inner Loop Header: Depth=1
	s_and_saveexec_b64 s[16:17], s[24:25]
	s_xor_b64 s[16:17], exec, s[16:17]
; %bb.9:                                ;   in Loop: Header=BB41_8 Depth=1
	v_mov_b32_e32 v11, v10
	v_mov_b32_e32 v12, v10
	;; [unrolled: 1-line block ×3, first 2 shown]
	ds_write_b128 v24, v[10:13]
; %bb.10:                               ;   in Loop: Header=BB41_8 Depth=1
	s_andn2_saveexec_b64 s[16:17], s[16:17]
	s_cbranch_execz .LBB41_15
; %bb.11:                               ;   in Loop: Header=BB41_8 Depth=1
	s_load_dword s7, s[12:13], 0x0
	s_mov_b64 s[34:35], -1
	s_and_b64 vcc, exec, s[28:29]
	s_waitcnt lgkmcnt(0)
	s_sub_i32 s7, s7, s20
	s_lshl_b32 s30, s7, 2
	s_cbranch_vccz .LBB41_13
; %bb.12:                               ;   in Loop: Header=BB41_8 Depth=1
	v_or_b32_e32 v11, s30, v0
	v_mul_lo_u32 v13, s9, v11
	v_mad_u64_u32 v[11:12], s[34:35], s8, v11, 0
	s_ashr_i32 s7, s30, 31
	s_mul_i32 s7, s8, s7
	v_add3_u32 v12, v12, s7, v13
	v_lshlrev_b64 v[11:12], 4, v[11:12]
	s_mov_b64 s[34:35], 0
	v_add_co_u32_e32 v11, vcc, v22, v11
	v_addc_co_u32_e32 v12, vcc, v23, v12, vcc
	global_load_dwordx4 v[29:32], v[11:12], off
	s_waitcnt vmcnt(0)
	ds_write2_b64 v24, v[29:30], v[31:32] offset1:1
.LBB41_13:                              ;   in Loop: Header=BB41_8 Depth=1
	s_andn2_b64 vcc, exec, s[34:35]
	s_cbranch_vccnz .LBB41_15
; %bb.14:                               ;   in Loop: Header=BB41_8 Depth=1
	s_ashr_i32 s31, s30, 31
	s_lshl_b64 s[30:31], s[30:31], 4
	v_mov_b32_e32 v12, s31
	v_add_co_u32_e32 v11, vcc, s30, v25
	v_addc_co_u32_e32 v12, vcc, v26, v12, vcc
	global_load_dwordx4 v[29:32], v[11:12], off
	s_waitcnt vmcnt(0)
	ds_write2_b64 v24, v[29:30], v[31:32] offset1:1
.LBB41_15:                              ;   in Loop: Header=BB41_8 Depth=1
	s_or_b64 exec, exec, s[16:17]
	s_and_saveexec_b64 s[16:17], s[26:27]
	s_cbranch_execz .LBB41_7
; %bb.16:                               ;   in Loop: Header=BB41_8 Depth=1
	v_ashrrev_i32_e32 v17, 31, v16
	v_lshlrev_b64 v[11:12], 4, v[16:17]
	v_mov_b32_e32 v13, s15
	v_add_co_u32_e32 v11, vcc, s14, v11
	v_addc_co_u32_e32 v12, vcc, v13, v12, vcc
	global_load_dwordx4 v[29:32], v[11:12], off
	s_waitcnt vmcnt(0)
	ds_write2_b64 v27, v[29:30], v[31:32] offset1:1
	s_branch .LBB41_7
.LBB41_17:
	s_and_b64 s[0:1], s[22:23], s[0:1]
	s_and_b64 s[0:1], s[0:1], s[2:3]
	s_and_b64 exec, exec, s[0:1]
	s_cbranch_execz .LBB41_22
; %bb.18:
	v_mul_f64 v[10:11], v[18:19], -v[8:9]
	v_mul_f64 v[12:13], v[6:7], v[18:19]
	s_load_dwordx2 s[2:3], s[4:5], 0x68
	v_cmp_neq_f64_e32 vcc, 0, v[2:3]
	v_cmp_neq_f64_e64 s[0:1], 0, v[4:5]
	v_lshl_add_u32 v0, s6, 1, v0
	s_waitcnt lgkmcnt(0)
	v_mul_lo_u32 v1, s3, v14
	v_fma_f64 v[6:7], v[6:7], v[20:21], v[10:11]
	v_fma_f64 v[8:9], v[8:9], v[20:21], v[12:13]
	v_mul_lo_u32 v16, s2, v15
	v_mad_u64_u32 v[14:15], s[2:3], s2, v14, 0
	s_or_b64 s[0:1], vcc, s[0:1]
	v_add3_u32 v15, v15, v16, v1
	v_lshlrev_b64 v[10:11], 4, v[14:15]
	v_ashrrev_i32_e32 v1, 31, v0
	s_and_saveexec_b64 s[2:3], s[0:1]
	s_xor_b64 s[0:1], exec, s[2:3]
	s_cbranch_execz .LBB41_20
; %bb.19:
	v_mov_b32_e32 v12, s11
	v_add_co_u32_e32 v10, vcc, s10, v10
	v_lshlrev_b64 v[0:1], 4, v[0:1]
	v_addc_co_u32_e32 v11, vcc, v12, v11, vcc
	v_add_co_u32_e32 v14, vcc, v10, v0
	v_addc_co_u32_e32 v15, vcc, v11, v1, vcc
	global_load_dwordx4 v[10:13], v[14:15], off
	s_waitcnt vmcnt(0)
	v_fma_f64 v[0:1], v[2:3], v[10:11], v[6:7]
	v_fma_f64 v[6:7], v[4:5], v[10:11], v[8:9]
                                        ; implicit-def: $vgpr10_vgpr11
	v_fma_f64 v[0:1], -v[4:5], v[12:13], v[0:1]
	v_fma_f64 v[2:3], v[2:3], v[12:13], v[6:7]
                                        ; implicit-def: $vgpr6_vgpr7
	global_store_dwordx4 v[14:15], v[0:3], off
                                        ; implicit-def: $vgpr0
.LBB41_20:
	s_andn2_saveexec_b64 s[0:1], s[0:1]
	s_cbranch_execz .LBB41_22
; %bb.21:
	v_mov_b32_e32 v2, s11
	v_add_co_u32_e32 v3, vcc, s10, v10
	v_lshlrev_b64 v[0:1], 4, v[0:1]
	v_addc_co_u32_e32 v2, vcc, v2, v11, vcc
	v_add_co_u32_e32 v0, vcc, v3, v0
	v_addc_co_u32_e32 v1, vcc, v2, v1, vcc
	global_store_dwordx4 v[0:1], v[6:9], off
.LBB41_22:
	s_endpgm
	.section	.rodata,"a",@progbits
	.p2align	6, 0x0
	.amdhsa_kernel _ZN9rocsparseL29gebsrmm_small_blockdim_kernelILi2ELi4ELi4ELi16E21rocsparse_complex_numIdEEEv20rocsparse_direction_20rocsparse_operation_iiNS_24const_host_device_scalarIT3_EEPKiS9_PKS6_iiSB_lS7_PS6_l21rocsparse_index_base_b
		.amdhsa_group_segment_fixed_size 1280
		.amdhsa_private_segment_fixed_size 0
		.amdhsa_kernarg_size 120
		.amdhsa_user_sgpr_count 6
		.amdhsa_user_sgpr_private_segment_buffer 1
		.amdhsa_user_sgpr_dispatch_ptr 0
		.amdhsa_user_sgpr_queue_ptr 0
		.amdhsa_user_sgpr_kernarg_segment_ptr 1
		.amdhsa_user_sgpr_dispatch_id 0
		.amdhsa_user_sgpr_flat_scratch_init 0
		.amdhsa_user_sgpr_private_segment_size 0
		.amdhsa_uses_dynamic_stack 0
		.amdhsa_system_sgpr_private_segment_wavefront_offset 0
		.amdhsa_system_sgpr_workgroup_id_x 1
		.amdhsa_system_sgpr_workgroup_id_y 1
		.amdhsa_system_sgpr_workgroup_id_z 0
		.amdhsa_system_sgpr_workgroup_info 0
		.amdhsa_system_vgpr_workitem_id 1
		.amdhsa_next_free_vgpr 37
		.amdhsa_next_free_sgpr 36
		.amdhsa_reserve_vcc 1
		.amdhsa_reserve_flat_scratch 0
		.amdhsa_float_round_mode_32 0
		.amdhsa_float_round_mode_16_64 0
		.amdhsa_float_denorm_mode_32 3
		.amdhsa_float_denorm_mode_16_64 3
		.amdhsa_dx10_clamp 1
		.amdhsa_ieee_mode 1
		.amdhsa_fp16_overflow 0
		.amdhsa_exception_fp_ieee_invalid_op 0
		.amdhsa_exception_fp_denorm_src 0
		.amdhsa_exception_fp_ieee_div_zero 0
		.amdhsa_exception_fp_ieee_overflow 0
		.amdhsa_exception_fp_ieee_underflow 0
		.amdhsa_exception_fp_ieee_inexact 0
		.amdhsa_exception_int_div_zero 0
	.end_amdhsa_kernel
	.section	.text._ZN9rocsparseL29gebsrmm_small_blockdim_kernelILi2ELi4ELi4ELi16E21rocsparse_complex_numIdEEEv20rocsparse_direction_20rocsparse_operation_iiNS_24const_host_device_scalarIT3_EEPKiS9_PKS6_iiSB_lS7_PS6_l21rocsparse_index_base_b,"axG",@progbits,_ZN9rocsparseL29gebsrmm_small_blockdim_kernelILi2ELi4ELi4ELi16E21rocsparse_complex_numIdEEEv20rocsparse_direction_20rocsparse_operation_iiNS_24const_host_device_scalarIT3_EEPKiS9_PKS6_iiSB_lS7_PS6_l21rocsparse_index_base_b,comdat
.Lfunc_end41:
	.size	_ZN9rocsparseL29gebsrmm_small_blockdim_kernelILi2ELi4ELi4ELi16E21rocsparse_complex_numIdEEEv20rocsparse_direction_20rocsparse_operation_iiNS_24const_host_device_scalarIT3_EEPKiS9_PKS6_iiSB_lS7_PS6_l21rocsparse_index_base_b, .Lfunc_end41-_ZN9rocsparseL29gebsrmm_small_blockdim_kernelILi2ELi4ELi4ELi16E21rocsparse_complex_numIdEEEv20rocsparse_direction_20rocsparse_operation_iiNS_24const_host_device_scalarIT3_EEPKiS9_PKS6_iiSB_lS7_PS6_l21rocsparse_index_base_b
                                        ; -- End function
	.set _ZN9rocsparseL29gebsrmm_small_blockdim_kernelILi2ELi4ELi4ELi16E21rocsparse_complex_numIdEEEv20rocsparse_direction_20rocsparse_operation_iiNS_24const_host_device_scalarIT3_EEPKiS9_PKS6_iiSB_lS7_PS6_l21rocsparse_index_base_b.num_vgpr, 37
	.set _ZN9rocsparseL29gebsrmm_small_blockdim_kernelILi2ELi4ELi4ELi16E21rocsparse_complex_numIdEEEv20rocsparse_direction_20rocsparse_operation_iiNS_24const_host_device_scalarIT3_EEPKiS9_PKS6_iiSB_lS7_PS6_l21rocsparse_index_base_b.num_agpr, 0
	.set _ZN9rocsparseL29gebsrmm_small_blockdim_kernelILi2ELi4ELi4ELi16E21rocsparse_complex_numIdEEEv20rocsparse_direction_20rocsparse_operation_iiNS_24const_host_device_scalarIT3_EEPKiS9_PKS6_iiSB_lS7_PS6_l21rocsparse_index_base_b.numbered_sgpr, 36
	.set _ZN9rocsparseL29gebsrmm_small_blockdim_kernelILi2ELi4ELi4ELi16E21rocsparse_complex_numIdEEEv20rocsparse_direction_20rocsparse_operation_iiNS_24const_host_device_scalarIT3_EEPKiS9_PKS6_iiSB_lS7_PS6_l21rocsparse_index_base_b.num_named_barrier, 0
	.set _ZN9rocsparseL29gebsrmm_small_blockdim_kernelILi2ELi4ELi4ELi16E21rocsparse_complex_numIdEEEv20rocsparse_direction_20rocsparse_operation_iiNS_24const_host_device_scalarIT3_EEPKiS9_PKS6_iiSB_lS7_PS6_l21rocsparse_index_base_b.private_seg_size, 0
	.set _ZN9rocsparseL29gebsrmm_small_blockdim_kernelILi2ELi4ELi4ELi16E21rocsparse_complex_numIdEEEv20rocsparse_direction_20rocsparse_operation_iiNS_24const_host_device_scalarIT3_EEPKiS9_PKS6_iiSB_lS7_PS6_l21rocsparse_index_base_b.uses_vcc, 1
	.set _ZN9rocsparseL29gebsrmm_small_blockdim_kernelILi2ELi4ELi4ELi16E21rocsparse_complex_numIdEEEv20rocsparse_direction_20rocsparse_operation_iiNS_24const_host_device_scalarIT3_EEPKiS9_PKS6_iiSB_lS7_PS6_l21rocsparse_index_base_b.uses_flat_scratch, 0
	.set _ZN9rocsparseL29gebsrmm_small_blockdim_kernelILi2ELi4ELi4ELi16E21rocsparse_complex_numIdEEEv20rocsparse_direction_20rocsparse_operation_iiNS_24const_host_device_scalarIT3_EEPKiS9_PKS6_iiSB_lS7_PS6_l21rocsparse_index_base_b.has_dyn_sized_stack, 0
	.set _ZN9rocsparseL29gebsrmm_small_blockdim_kernelILi2ELi4ELi4ELi16E21rocsparse_complex_numIdEEEv20rocsparse_direction_20rocsparse_operation_iiNS_24const_host_device_scalarIT3_EEPKiS9_PKS6_iiSB_lS7_PS6_l21rocsparse_index_base_b.has_recursion, 0
	.set _ZN9rocsparseL29gebsrmm_small_blockdim_kernelILi2ELi4ELi4ELi16E21rocsparse_complex_numIdEEEv20rocsparse_direction_20rocsparse_operation_iiNS_24const_host_device_scalarIT3_EEPKiS9_PKS6_iiSB_lS7_PS6_l21rocsparse_index_base_b.has_indirect_call, 0
	.section	.AMDGPU.csdata,"",@progbits
; Kernel info:
; codeLenInByte = 1316
; TotalNumSgprs: 40
; NumVgprs: 37
; ScratchSize: 0
; MemoryBound: 0
; FloatMode: 240
; IeeeMode: 1
; LDSByteSize: 1280 bytes/workgroup (compile time only)
; SGPRBlocks: 4
; VGPRBlocks: 9
; NumSGPRsForWavesPerEU: 40
; NumVGPRsForWavesPerEU: 37
; Occupancy: 6
; WaveLimiterHint : 0
; COMPUTE_PGM_RSRC2:SCRATCH_EN: 0
; COMPUTE_PGM_RSRC2:USER_SGPR: 6
; COMPUTE_PGM_RSRC2:TRAP_HANDLER: 0
; COMPUTE_PGM_RSRC2:TGID_X_EN: 1
; COMPUTE_PGM_RSRC2:TGID_Y_EN: 1
; COMPUTE_PGM_RSRC2:TGID_Z_EN: 0
; COMPUTE_PGM_RSRC2:TIDIG_COMP_CNT: 1
	.section	.text._ZN9rocsparseL29gebsrmm_small_blockdim_kernelILi3ELi1ELi3ELi16E21rocsparse_complex_numIdEEEv20rocsparse_direction_20rocsparse_operation_iiNS_24const_host_device_scalarIT3_EEPKiS9_PKS6_iiSB_lS7_PS6_l21rocsparse_index_base_b,"axG",@progbits,_ZN9rocsparseL29gebsrmm_small_blockdim_kernelILi3ELi1ELi3ELi16E21rocsparse_complex_numIdEEEv20rocsparse_direction_20rocsparse_operation_iiNS_24const_host_device_scalarIT3_EEPKiS9_PKS6_iiSB_lS7_PS6_l21rocsparse_index_base_b,comdat
	.globl	_ZN9rocsparseL29gebsrmm_small_blockdim_kernelILi3ELi1ELi3ELi16E21rocsparse_complex_numIdEEEv20rocsparse_direction_20rocsparse_operation_iiNS_24const_host_device_scalarIT3_EEPKiS9_PKS6_iiSB_lS7_PS6_l21rocsparse_index_base_b ; -- Begin function _ZN9rocsparseL29gebsrmm_small_blockdim_kernelILi3ELi1ELi3ELi16E21rocsparse_complex_numIdEEEv20rocsparse_direction_20rocsparse_operation_iiNS_24const_host_device_scalarIT3_EEPKiS9_PKS6_iiSB_lS7_PS6_l21rocsparse_index_base_b
	.p2align	8
	.type	_ZN9rocsparseL29gebsrmm_small_blockdim_kernelILi3ELi1ELi3ELi16E21rocsparse_complex_numIdEEEv20rocsparse_direction_20rocsparse_operation_iiNS_24const_host_device_scalarIT3_EEPKiS9_PKS6_iiSB_lS7_PS6_l21rocsparse_index_base_b,@function
_ZN9rocsparseL29gebsrmm_small_blockdim_kernelILi3ELi1ELi3ELi16E21rocsparse_complex_numIdEEEv20rocsparse_direction_20rocsparse_operation_iiNS_24const_host_device_scalarIT3_EEPKiS9_PKS6_iiSB_lS7_PS6_l21rocsparse_index_base_b: ; @_ZN9rocsparseL29gebsrmm_small_blockdim_kernelILi3ELi1ELi3ELi16E21rocsparse_complex_numIdEEEv20rocsparse_direction_20rocsparse_operation_iiNS_24const_host_device_scalarIT3_EEPKiS9_PKS6_iiSB_lS7_PS6_l21rocsparse_index_base_b
; %bb.0:
	s_load_dwordx2 s[0:1], s[4:5], 0x10
	s_load_dwordx4 s[8:11], s[4:5], 0x48
	s_load_dwordx2 s[20:21], s[4:5], 0x70
	s_add_u32 s2, s4, 16
	s_addc_u32 s3, s5, 0
	s_add_u32 s12, s4, 0x50
	s_addc_u32 s13, s5, 0
	s_waitcnt lgkmcnt(0)
	s_bitcmp1_b32 s21, 0
	s_cselect_b32 s1, s3, s1
	s_cselect_b32 s0, s2, s0
	v_mov_b32_e32 v2, s0
	v_mov_b32_e32 v3, s1
	flat_load_dwordx4 v[6:9], v[2:3]
	s_cselect_b32 s0, s13, s11
	s_cselect_b32 s1, s12, s10
	v_mov_b32_e32 v2, s1
	v_mov_b32_e32 v3, s0
	flat_load_dwordx4 v[2:5], v[2:3]
	s_waitcnt vmcnt(0) lgkmcnt(0)
	v_cmp_eq_f64_e32 vcc, 0, v[6:7]
	v_cmp_eq_f64_e64 s[0:1], 0, v[8:9]
	s_and_b64 s[10:11], vcc, s[0:1]
	s_mov_b64 s[0:1], -1
	s_and_saveexec_b64 s[2:3], s[10:11]
	s_cbranch_execz .LBB42_2
; %bb.1:
	v_cmp_neq_f64_e32 vcc, 1.0, v[2:3]
	v_cmp_neq_f64_e64 s[0:1], 0, v[4:5]
	s_or_b64 s[0:1], vcc, s[0:1]
	s_orn2_b64 s[0:1], s[0:1], exec
.LBB42_2:
	s_or_b64 exec, exec, s[2:3]
	s_and_saveexec_b64 s[2:3], s[0:1]
	s_cbranch_execz .LBB42_22
; %bb.3:
	s_load_dwordx4 s[16:19], s[4:5], 0x4
	s_mov_b32 s21, 0
	s_mov_b32 s24, 0
	s_waitcnt lgkmcnt(0)
	s_cmp_lt_i32 s6, s17
	s_cselect_b64 s[22:23], -1, 0
	s_cmp_ge_i32 s6, s17
	s_cbranch_scc1 .LBB42_5
; %bb.4:
	s_load_dwordx2 s[2:3], s[4:5], 0x20
	s_mov_b32 s0, s7
	s_ashr_i32 s7, s6, 31
	s_lshl_b64 s[10:11], s[6:7], 2
	s_mov_b32 s7, s0
	s_waitcnt lgkmcnt(0)
	s_add_u32 s0, s2, s10
	s_addc_u32 s1, s3, s11
	s_load_dwordx2 s[2:3], s[0:1], 0x0
	s_waitcnt lgkmcnt(0)
	s_sub_i32 s24, s2, s20
	s_sub_i32 s21, s3, s20
.LBB42_5:
	s_load_dwordx2 s[10:11], s[4:5], 0x60
	v_lshl_add_u32 v14, s7, 4, v1
	v_mov_b32_e32 v16, 0
	v_mov_b32_e32 v18, 0
	v_ashrrev_i32_e32 v15, 31, v14
	v_cmp_gt_i32_e64 s[0:1], s18, v14
	v_mov_b32_e32 v17, 0
	s_cmp_ge_i32 s24, s21
	v_mov_b32_e32 v19, 0
	v_cmp_gt_u32_e64 s[2:3], 3, v0
	s_cbranch_scc1 .LBB42_17
; %bb.6:
	s_load_dwordx4 s[12:15], s[4:5], 0x28
	s_load_dwordx2 s[28:29], s[4:5], 0x40
	v_mul_lo_u32 v17, s9, v14
	v_mul_lo_u32 v18, s8, v15
	v_mad_u64_u32 v[12:13], s[30:31], s8, v14, 0
	v_cmp_ne_u32_e32 vcc, 0, v0
	s_xor_b64 s[18:19], s[0:1], -1
	v_lshlrev_b64 v[10:11], 4, v[14:15]
	s_or_b64 s[18:19], vcc, s[18:19]
	v_cmp_eq_u32_e32 vcc, 0, v1
	s_and_b64 s[26:27], s[2:3], vcc
	s_waitcnt lgkmcnt(0)
	v_mov_b32_e32 v16, s29
	v_add_co_u32_e32 v22, vcc, s28, v10
	v_add3_u32 v13, v13, v18, v17
	v_addc_co_u32_e32 v23, vcc, v16, v11, vcc
	s_cmpk_lg_i32 s16, 0x6f
	v_lshlrev_b64 v[10:11], 4, v[12:13]
	s_cselect_b64 s[16:17], -1, 0
	s_ashr_i32 s25, s24, 31
	v_mul_u32_u24_e32 v16, 3, v1
	v_mov_b32_e32 v12, s29
	v_add_co_u32_e32 v24, vcc, s28, v10
	s_lshl_b64 s[28:29], s[24:25], 2
	v_add_lshl_u32 v1, v16, v0, 4
	s_add_u32 s12, s12, s28
	s_addc_u32 s13, s13, s29
	v_mad_u64_u32 v[20:21], s[28:29], s24, 3, v[0:1]
	v_mov_b32_e32 v10, 0x300
	v_lshlrev_b32_e32 v28, 4, v16
	v_mov_b32_e32 v16, 0
	v_mov_b32_e32 v18, 0
	v_addc_co_u32_e32 v25, vcc, v12, v11, vcc
	v_add_u32_e32 v26, 0x300, v1
	v_lshl_add_u32 v27, v0, 4, v10
	v_mov_b32_e32 v17, 0
	v_mov_b32_e32 v19, 0
	;; [unrolled: 1-line block ×3, first 2 shown]
	s_branch .LBB42_8
.LBB42_7:                               ;   in Loop: Header=BB42_8 Depth=1
	s_or_b64 exec, exec, s[28:29]
	s_waitcnt lgkmcnt(0)
	; wave barrier
	ds_read_b128 v[29:32], v27
	ds_read_b128 v[33:36], v28
	s_add_i32 s24, s24, 1
	s_add_u32 s12, s12, 4
	s_addc_u32 s13, s13, 0
	s_cmp_ge_i32 s24, s21
	s_waitcnt lgkmcnt(0)
	v_fma_f64 v[11:12], v[29:30], v[33:34], v[18:19]
	v_fma_f64 v[16:17], v[31:32], v[33:34], v[16:17]
	v_add_u32_e32 v20, 3, v20
	; wave barrier
	v_fma_f64 v[18:19], -v[31:32], v[35:36], v[11:12]
	v_fma_f64 v[16:17], v[29:30], v[35:36], v[16:17]
	s_cbranch_scc1 .LBB42_17
.LBB42_8:                               ; =>This Inner Loop Header: Depth=1
	s_and_saveexec_b64 s[28:29], s[18:19]
	s_xor_b64 s[28:29], exec, s[28:29]
; %bb.9:                                ;   in Loop: Header=BB42_8 Depth=1
	v_mov_b32_e32 v11, v10
	v_mov_b32_e32 v12, v10
	;; [unrolled: 1-line block ×3, first 2 shown]
	ds_write_b128 v1, v[10:13]
; %bb.10:                               ;   in Loop: Header=BB42_8 Depth=1
	s_andn2_saveexec_b64 s[28:29], s[28:29]
	s_cbranch_execz .LBB42_15
; %bb.11:                               ;   in Loop: Header=BB42_8 Depth=1
	s_load_dword s7, s[12:13], 0x0
	s_mov_b64 s[34:35], -1
	s_and_b64 vcc, exec, s[16:17]
	s_waitcnt lgkmcnt(0)
	s_sub_i32 s30, s7, s20
	s_ashr_i32 s31, s30, 31
	s_cbranch_vccz .LBB42_13
; %bb.12:                               ;   in Loop: Header=BB42_8 Depth=1
	s_mul_i32 s7, s8, s31
	s_mul_hi_u32 s25, s8, s30
	s_add_i32 s7, s25, s7
	s_mul_i32 s25, s9, s30
	s_add_i32 s35, s7, s25
	s_mul_i32 s34, s8, s30
	s_lshl_b64 s[34:35], s[34:35], 4
	v_mov_b32_e32 v12, s35
	v_add_co_u32_e32 v11, vcc, s34, v22
	v_addc_co_u32_e32 v12, vcc, v23, v12, vcc
	global_load_dwordx4 v[29:32], v[11:12], off
	s_mov_b64 s[34:35], 0
	s_waitcnt vmcnt(0)
	ds_write2_b64 v1, v[29:30], v[31:32] offset1:1
.LBB42_13:                              ;   in Loop: Header=BB42_8 Depth=1
	s_andn2_b64 vcc, exec, s[34:35]
	s_cbranch_vccnz .LBB42_15
; %bb.14:                               ;   in Loop: Header=BB42_8 Depth=1
	s_lshl_b64 s[30:31], s[30:31], 4
	v_mov_b32_e32 v12, s31
	v_add_co_u32_e32 v11, vcc, s30, v24
	v_addc_co_u32_e32 v12, vcc, v25, v12, vcc
	global_load_dwordx4 v[29:32], v[11:12], off
	s_waitcnt vmcnt(0)
	ds_write2_b64 v1, v[29:30], v[31:32] offset1:1
.LBB42_15:                              ;   in Loop: Header=BB42_8 Depth=1
	s_or_b64 exec, exec, s[28:29]
	s_and_saveexec_b64 s[28:29], s[26:27]
	s_cbranch_execz .LBB42_7
; %bb.16:                               ;   in Loop: Header=BB42_8 Depth=1
	v_ashrrev_i32_e32 v21, 31, v20
	v_lshlrev_b64 v[11:12], 4, v[20:21]
	v_mov_b32_e32 v13, s15
	v_add_co_u32_e32 v11, vcc, s14, v11
	v_addc_co_u32_e32 v12, vcc, v13, v12, vcc
	global_load_dwordx4 v[29:32], v[11:12], off
	s_waitcnt vmcnt(0)
	ds_write2_b64 v26, v[29:30], v[31:32] offset1:1
	s_branch .LBB42_7
.LBB42_17:
	s_and_b64 s[0:1], s[22:23], s[0:1]
	s_and_b64 s[0:1], s[0:1], s[2:3]
	s_and_b64 exec, exec, s[0:1]
	s_cbranch_execz .LBB42_22
; %bb.18:
	v_mul_f64 v[10:11], v[16:17], -v[8:9]
	v_mul_f64 v[12:13], v[6:7], v[16:17]
	s_load_dwordx2 s[2:3], s[4:5], 0x68
	v_cmp_neq_f64_e32 vcc, 0, v[2:3]
	v_cmp_neq_f64_e64 s[0:1], 0, v[4:5]
	s_waitcnt lgkmcnt(0)
	v_mul_lo_u32 v16, s3, v14
	v_fma_f64 v[6:7], v[6:7], v[18:19], v[10:11]
	v_fma_f64 v[8:9], v[8:9], v[18:19], v[12:13]
	v_mul_lo_u32 v17, s2, v15
	v_mad_u64_u32 v[14:15], s[2:3], s2, v14, 0
	v_mad_u64_u32 v[0:1], s[2:3], s6, 3, v[0:1]
	v_add3_u32 v15, v15, v17, v16
	v_lshlrev_b64 v[10:11], 4, v[14:15]
	s_or_b64 s[0:1], vcc, s[0:1]
	v_ashrrev_i32_e32 v1, 31, v0
	s_and_saveexec_b64 s[2:3], s[0:1]
	s_xor_b64 s[0:1], exec, s[2:3]
	s_cbranch_execz .LBB42_20
; %bb.19:
	v_mov_b32_e32 v12, s11
	v_add_co_u32_e32 v10, vcc, s10, v10
	v_lshlrev_b64 v[0:1], 4, v[0:1]
	v_addc_co_u32_e32 v11, vcc, v12, v11, vcc
	v_add_co_u32_e32 v14, vcc, v10, v0
	v_addc_co_u32_e32 v15, vcc, v11, v1, vcc
	global_load_dwordx4 v[10:13], v[14:15], off
	s_waitcnt vmcnt(0)
	v_fma_f64 v[0:1], v[2:3], v[10:11], v[6:7]
	v_fma_f64 v[6:7], v[4:5], v[10:11], v[8:9]
                                        ; implicit-def: $vgpr10_vgpr11
	v_fma_f64 v[0:1], -v[4:5], v[12:13], v[0:1]
	v_fma_f64 v[2:3], v[2:3], v[12:13], v[6:7]
                                        ; implicit-def: $vgpr6_vgpr7
	global_store_dwordx4 v[14:15], v[0:3], off
                                        ; implicit-def: $vgpr0_vgpr1
.LBB42_20:
	s_andn2_saveexec_b64 s[0:1], s[0:1]
	s_cbranch_execz .LBB42_22
; %bb.21:
	v_mov_b32_e32 v2, s11
	v_add_co_u32_e32 v3, vcc, s10, v10
	v_lshlrev_b64 v[0:1], 4, v[0:1]
	v_addc_co_u32_e32 v2, vcc, v2, v11, vcc
	v_add_co_u32_e32 v0, vcc, v3, v0
	v_addc_co_u32_e32 v1, vcc, v2, v1, vcc
	global_store_dwordx4 v[0:1], v[6:9], off
.LBB42_22:
	s_endpgm
	.section	.rodata,"a",@progbits
	.p2align	6, 0x0
	.amdhsa_kernel _ZN9rocsparseL29gebsrmm_small_blockdim_kernelILi3ELi1ELi3ELi16E21rocsparse_complex_numIdEEEv20rocsparse_direction_20rocsparse_operation_iiNS_24const_host_device_scalarIT3_EEPKiS9_PKS6_iiSB_lS7_PS6_l21rocsparse_index_base_b
		.amdhsa_group_segment_fixed_size 912
		.amdhsa_private_segment_fixed_size 0
		.amdhsa_kernarg_size 120
		.amdhsa_user_sgpr_count 6
		.amdhsa_user_sgpr_private_segment_buffer 1
		.amdhsa_user_sgpr_dispatch_ptr 0
		.amdhsa_user_sgpr_queue_ptr 0
		.amdhsa_user_sgpr_kernarg_segment_ptr 1
		.amdhsa_user_sgpr_dispatch_id 0
		.amdhsa_user_sgpr_flat_scratch_init 0
		.amdhsa_user_sgpr_private_segment_size 0
		.amdhsa_uses_dynamic_stack 0
		.amdhsa_system_sgpr_private_segment_wavefront_offset 0
		.amdhsa_system_sgpr_workgroup_id_x 1
		.amdhsa_system_sgpr_workgroup_id_y 1
		.amdhsa_system_sgpr_workgroup_id_z 0
		.amdhsa_system_sgpr_workgroup_info 0
		.amdhsa_system_vgpr_workitem_id 1
		.amdhsa_next_free_vgpr 37
		.amdhsa_next_free_sgpr 36
		.amdhsa_reserve_vcc 1
		.amdhsa_reserve_flat_scratch 0
		.amdhsa_float_round_mode_32 0
		.amdhsa_float_round_mode_16_64 0
		.amdhsa_float_denorm_mode_32 3
		.amdhsa_float_denorm_mode_16_64 3
		.amdhsa_dx10_clamp 1
		.amdhsa_ieee_mode 1
		.amdhsa_fp16_overflow 0
		.amdhsa_exception_fp_ieee_invalid_op 0
		.amdhsa_exception_fp_denorm_src 0
		.amdhsa_exception_fp_ieee_div_zero 0
		.amdhsa_exception_fp_ieee_overflow 0
		.amdhsa_exception_fp_ieee_underflow 0
		.amdhsa_exception_fp_ieee_inexact 0
		.amdhsa_exception_int_div_zero 0
	.end_amdhsa_kernel
	.section	.text._ZN9rocsparseL29gebsrmm_small_blockdim_kernelILi3ELi1ELi3ELi16E21rocsparse_complex_numIdEEEv20rocsparse_direction_20rocsparse_operation_iiNS_24const_host_device_scalarIT3_EEPKiS9_PKS6_iiSB_lS7_PS6_l21rocsparse_index_base_b,"axG",@progbits,_ZN9rocsparseL29gebsrmm_small_blockdim_kernelILi3ELi1ELi3ELi16E21rocsparse_complex_numIdEEEv20rocsparse_direction_20rocsparse_operation_iiNS_24const_host_device_scalarIT3_EEPKiS9_PKS6_iiSB_lS7_PS6_l21rocsparse_index_base_b,comdat
.Lfunc_end42:
	.size	_ZN9rocsparseL29gebsrmm_small_blockdim_kernelILi3ELi1ELi3ELi16E21rocsparse_complex_numIdEEEv20rocsparse_direction_20rocsparse_operation_iiNS_24const_host_device_scalarIT3_EEPKiS9_PKS6_iiSB_lS7_PS6_l21rocsparse_index_base_b, .Lfunc_end42-_ZN9rocsparseL29gebsrmm_small_blockdim_kernelILi3ELi1ELi3ELi16E21rocsparse_complex_numIdEEEv20rocsparse_direction_20rocsparse_operation_iiNS_24const_host_device_scalarIT3_EEPKiS9_PKS6_iiSB_lS7_PS6_l21rocsparse_index_base_b
                                        ; -- End function
	.set _ZN9rocsparseL29gebsrmm_small_blockdim_kernelILi3ELi1ELi3ELi16E21rocsparse_complex_numIdEEEv20rocsparse_direction_20rocsparse_operation_iiNS_24const_host_device_scalarIT3_EEPKiS9_PKS6_iiSB_lS7_PS6_l21rocsparse_index_base_b.num_vgpr, 37
	.set _ZN9rocsparseL29gebsrmm_small_blockdim_kernelILi3ELi1ELi3ELi16E21rocsparse_complex_numIdEEEv20rocsparse_direction_20rocsparse_operation_iiNS_24const_host_device_scalarIT3_EEPKiS9_PKS6_iiSB_lS7_PS6_l21rocsparse_index_base_b.num_agpr, 0
	.set _ZN9rocsparseL29gebsrmm_small_blockdim_kernelILi3ELi1ELi3ELi16E21rocsparse_complex_numIdEEEv20rocsparse_direction_20rocsparse_operation_iiNS_24const_host_device_scalarIT3_EEPKiS9_PKS6_iiSB_lS7_PS6_l21rocsparse_index_base_b.numbered_sgpr, 36
	.set _ZN9rocsparseL29gebsrmm_small_blockdim_kernelILi3ELi1ELi3ELi16E21rocsparse_complex_numIdEEEv20rocsparse_direction_20rocsparse_operation_iiNS_24const_host_device_scalarIT3_EEPKiS9_PKS6_iiSB_lS7_PS6_l21rocsparse_index_base_b.num_named_barrier, 0
	.set _ZN9rocsparseL29gebsrmm_small_blockdim_kernelILi3ELi1ELi3ELi16E21rocsparse_complex_numIdEEEv20rocsparse_direction_20rocsparse_operation_iiNS_24const_host_device_scalarIT3_EEPKiS9_PKS6_iiSB_lS7_PS6_l21rocsparse_index_base_b.private_seg_size, 0
	.set _ZN9rocsparseL29gebsrmm_small_blockdim_kernelILi3ELi1ELi3ELi16E21rocsparse_complex_numIdEEEv20rocsparse_direction_20rocsparse_operation_iiNS_24const_host_device_scalarIT3_EEPKiS9_PKS6_iiSB_lS7_PS6_l21rocsparse_index_base_b.uses_vcc, 1
	.set _ZN9rocsparseL29gebsrmm_small_blockdim_kernelILi3ELi1ELi3ELi16E21rocsparse_complex_numIdEEEv20rocsparse_direction_20rocsparse_operation_iiNS_24const_host_device_scalarIT3_EEPKiS9_PKS6_iiSB_lS7_PS6_l21rocsparse_index_base_b.uses_flat_scratch, 0
	.set _ZN9rocsparseL29gebsrmm_small_blockdim_kernelILi3ELi1ELi3ELi16E21rocsparse_complex_numIdEEEv20rocsparse_direction_20rocsparse_operation_iiNS_24const_host_device_scalarIT3_EEPKiS9_PKS6_iiSB_lS7_PS6_l21rocsparse_index_base_b.has_dyn_sized_stack, 0
	.set _ZN9rocsparseL29gebsrmm_small_blockdim_kernelILi3ELi1ELi3ELi16E21rocsparse_complex_numIdEEEv20rocsparse_direction_20rocsparse_operation_iiNS_24const_host_device_scalarIT3_EEPKiS9_PKS6_iiSB_lS7_PS6_l21rocsparse_index_base_b.has_recursion, 0
	.set _ZN9rocsparseL29gebsrmm_small_blockdim_kernelILi3ELi1ELi3ELi16E21rocsparse_complex_numIdEEEv20rocsparse_direction_20rocsparse_operation_iiNS_24const_host_device_scalarIT3_EEPKiS9_PKS6_iiSB_lS7_PS6_l21rocsparse_index_base_b.has_indirect_call, 0
	.section	.AMDGPU.csdata,"",@progbits
; Kernel info:
; codeLenInByte = 1112
; TotalNumSgprs: 40
; NumVgprs: 37
; ScratchSize: 0
; MemoryBound: 0
; FloatMode: 240
; IeeeMode: 1
; LDSByteSize: 912 bytes/workgroup (compile time only)
; SGPRBlocks: 4
; VGPRBlocks: 9
; NumSGPRsForWavesPerEU: 40
; NumVGPRsForWavesPerEU: 37
; Occupancy: 6
; WaveLimiterHint : 0
; COMPUTE_PGM_RSRC2:SCRATCH_EN: 0
; COMPUTE_PGM_RSRC2:USER_SGPR: 6
; COMPUTE_PGM_RSRC2:TRAP_HANDLER: 0
; COMPUTE_PGM_RSRC2:TGID_X_EN: 1
; COMPUTE_PGM_RSRC2:TGID_Y_EN: 1
; COMPUTE_PGM_RSRC2:TGID_Z_EN: 0
; COMPUTE_PGM_RSRC2:TIDIG_COMP_CNT: 1
	.section	.text._ZN9rocsparseL29gebsrmm_small_blockdim_kernelILi3ELi2ELi3ELi16E21rocsparse_complex_numIdEEEv20rocsparse_direction_20rocsparse_operation_iiNS_24const_host_device_scalarIT3_EEPKiS9_PKS6_iiSB_lS7_PS6_l21rocsparse_index_base_b,"axG",@progbits,_ZN9rocsparseL29gebsrmm_small_blockdim_kernelILi3ELi2ELi3ELi16E21rocsparse_complex_numIdEEEv20rocsparse_direction_20rocsparse_operation_iiNS_24const_host_device_scalarIT3_EEPKiS9_PKS6_iiSB_lS7_PS6_l21rocsparse_index_base_b,comdat
	.globl	_ZN9rocsparseL29gebsrmm_small_blockdim_kernelILi3ELi2ELi3ELi16E21rocsparse_complex_numIdEEEv20rocsparse_direction_20rocsparse_operation_iiNS_24const_host_device_scalarIT3_EEPKiS9_PKS6_iiSB_lS7_PS6_l21rocsparse_index_base_b ; -- Begin function _ZN9rocsparseL29gebsrmm_small_blockdim_kernelILi3ELi2ELi3ELi16E21rocsparse_complex_numIdEEEv20rocsparse_direction_20rocsparse_operation_iiNS_24const_host_device_scalarIT3_EEPKiS9_PKS6_iiSB_lS7_PS6_l21rocsparse_index_base_b
	.p2align	8
	.type	_ZN9rocsparseL29gebsrmm_small_blockdim_kernelILi3ELi2ELi3ELi16E21rocsparse_complex_numIdEEEv20rocsparse_direction_20rocsparse_operation_iiNS_24const_host_device_scalarIT3_EEPKiS9_PKS6_iiSB_lS7_PS6_l21rocsparse_index_base_b,@function
_ZN9rocsparseL29gebsrmm_small_blockdim_kernelILi3ELi2ELi3ELi16E21rocsparse_complex_numIdEEEv20rocsparse_direction_20rocsparse_operation_iiNS_24const_host_device_scalarIT3_EEPKiS9_PKS6_iiSB_lS7_PS6_l21rocsparse_index_base_b: ; @_ZN9rocsparseL29gebsrmm_small_blockdim_kernelILi3ELi2ELi3ELi16E21rocsparse_complex_numIdEEEv20rocsparse_direction_20rocsparse_operation_iiNS_24const_host_device_scalarIT3_EEPKiS9_PKS6_iiSB_lS7_PS6_l21rocsparse_index_base_b
; %bb.0:
	s_load_dwordx2 s[0:1], s[4:5], 0x10
	s_load_dwordx4 s[8:11], s[4:5], 0x48
	s_load_dwordx2 s[20:21], s[4:5], 0x70
	s_add_u32 s2, s4, 16
	s_addc_u32 s3, s5, 0
	s_add_u32 s12, s4, 0x50
	s_addc_u32 s13, s5, 0
	s_waitcnt lgkmcnt(0)
	s_bitcmp1_b32 s21, 0
	s_cselect_b32 s1, s3, s1
	s_cselect_b32 s0, s2, s0
	v_mov_b32_e32 v2, s0
	v_mov_b32_e32 v3, s1
	flat_load_dwordx4 v[6:9], v[2:3]
	s_cselect_b32 s0, s13, s11
	s_cselect_b32 s1, s12, s10
	v_mov_b32_e32 v2, s1
	v_mov_b32_e32 v3, s0
	flat_load_dwordx4 v[2:5], v[2:3]
	s_waitcnt vmcnt(0) lgkmcnt(0)
	v_cmp_eq_f64_e32 vcc, 0, v[6:7]
	v_cmp_eq_f64_e64 s[0:1], 0, v[8:9]
	s_and_b64 s[10:11], vcc, s[0:1]
	s_mov_b64 s[0:1], -1
	s_and_saveexec_b64 s[2:3], s[10:11]
	s_cbranch_execz .LBB43_2
; %bb.1:
	v_cmp_neq_f64_e32 vcc, 1.0, v[2:3]
	v_cmp_neq_f64_e64 s[0:1], 0, v[4:5]
	s_or_b64 s[0:1], vcc, s[0:1]
	s_orn2_b64 s[0:1], s[0:1], exec
.LBB43_2:
	s_or_b64 exec, exec, s[2:3]
	s_and_saveexec_b64 s[2:3], s[0:1]
	s_cbranch_execz .LBB43_22
; %bb.3:
	s_load_dwordx4 s[16:19], s[4:5], 0x0
	s_mov_b32 s21, 0
	s_waitcnt lgkmcnt(0)
	s_cmp_lt_i32 s6, s18
	s_cselect_b64 s[22:23], -1, 0
	s_cmp_ge_i32 s6, s18
	s_mov_b32 s18, 0
	s_cbranch_scc1 .LBB43_5
; %bb.4:
	s_load_dwordx2 s[2:3], s[4:5], 0x20
	s_mov_b32 s0, s7
	s_ashr_i32 s7, s6, 31
	s_lshl_b64 s[10:11], s[6:7], 2
	s_mov_b32 s7, s0
	s_waitcnt lgkmcnt(0)
	s_add_u32 s0, s2, s10
	s_addc_u32 s1, s3, s11
	s_load_dwordx2 s[2:3], s[0:1], 0x0
	s_waitcnt lgkmcnt(0)
	s_sub_i32 s18, s2, s20
	s_sub_i32 s21, s3, s20
.LBB43_5:
	s_load_dwordx2 s[10:11], s[4:5], 0x60
	v_lshl_add_u32 v14, s7, 4, v1
	v_mov_b32_e32 v16, 0
	v_mov_b32_e32 v18, 0
	v_ashrrev_i32_e32 v15, 31, v14
	v_cmp_gt_i32_e64 s[0:1], s19, v14
	v_mov_b32_e32 v17, 0
	s_cmp_ge_i32 s18, s21
	v_mov_b32_e32 v19, 0
	v_cmp_gt_u32_e64 s[2:3], 3, v0
	s_cbranch_scc1 .LBB43_17
; %bb.6:
	s_load_dwordx4 s[12:15], s[4:5], 0x28
	s_load_dwordx2 s[30:31], s[4:5], 0x40
	v_mul_lo_u32 v17, s9, v14
	v_mul_lo_u32 v18, s8, v15
	v_mad_u64_u32 v[12:13], s[28:29], s8, v14, 0
	v_cmp_lt_u32_e32 vcc, 1, v0
	s_xor_b64 s[24:25], s[0:1], -1
	v_lshlrev_b64 v[10:11], 4, v[14:15]
	s_or_b64 s[24:25], s[24:25], vcc
	v_cmp_gt_u32_e32 vcc, 2, v1
	s_and_b64 s[26:27], s[2:3], vcc
	s_waitcnt lgkmcnt(0)
	v_mov_b32_e32 v16, s31
	v_add_co_u32_e32 v22, vcc, s30, v10
	v_add3_u32 v13, v13, v18, v17
	v_addc_co_u32_e32 v23, vcc, v16, v11, vcc
	v_lshlrev_b64 v[10:11], 4, v[12:13]
	v_mov_b32_e32 v12, s31
	v_add_co_u32_e32 v10, vcc, s30, v10
	v_addc_co_u32_e32 v11, vcc, v12, v11, vcc
	v_lshlrev_b32_e32 v12, 4, v0
	s_cmpk_lg_i32 s17, 0x6f
	v_add_co_u32_e32 v25, vcc, v10, v12
	s_cselect_b64 s[28:29], -1, 0
	v_addc_co_u32_e32 v26, vcc, 0, v11, vcc
	s_cmp_eq_u32 s16, 0
	s_cselect_b64 vcc, -1, 0
	s_ashr_i32 s19, s18, 31
	v_mad_u32_u24 v17, v1, 3, v0
	v_lshl_add_u32 v10, v0, 1, v1
	s_lshl_b64 s[16:17], s[18:19], 2
	v_cndmask_b32_e32 v10, v17, v10, vcc
	s_add_u32 s12, s12, s16
	s_addc_u32 s13, s13, s17
	v_mad_u64_u32 v[20:21], s[16:17], s18, 6, v[10:11]
	v_mul_u32_u24_e32 v16, 3, v1
	v_lshlrev_b32_e32 v24, 4, v17
	v_lshlrev_b32_e32 v28, 4, v16
	v_mov_b32_e32 v16, 0
	v_mov_b32_e32 v18, 0
	v_add_u32_e32 v27, 0x300, v24
	v_add_u32_e32 v1, 0x300, v12
	v_mov_b32_e32 v17, 0
	v_mov_b32_e32 v19, 0
	;; [unrolled: 1-line block ×3, first 2 shown]
	s_branch .LBB43_8
.LBB43_7:                               ;   in Loop: Header=BB43_8 Depth=1
	s_or_b64 exec, exec, s[16:17]
	s_waitcnt lgkmcnt(0)
	; wave barrier
	ds_read_b128 v[29:32], v28
	ds_read_b128 v[33:36], v1
	s_add_i32 s18, s18, 1
	s_add_u32 s12, s12, 4
	s_addc_u32 s13, s13, 0
	s_cmp_ge_i32 s18, s21
	s_waitcnt lgkmcnt(0)
	v_fma_f64 v[11:12], v[33:34], v[29:30], v[18:19]
	v_fma_f64 v[16:17], v[35:36], v[29:30], v[16:17]
	v_add_u32_e32 v20, 6, v20
	v_fma_f64 v[11:12], -v[35:36], v[31:32], v[11:12]
	v_fma_f64 v[33:34], v[33:34], v[31:32], v[16:17]
	ds_read_b128 v[16:19], v1 offset:48
	ds_read_b128 v[29:32], v28 offset:16
	s_waitcnt lgkmcnt(0)
	; wave barrier
	v_fma_f64 v[11:12], v[16:17], v[29:30], v[11:12]
	v_fma_f64 v[29:30], v[18:19], v[29:30], v[33:34]
	v_fma_f64 v[18:19], -v[18:19], v[31:32], v[11:12]
	v_fma_f64 v[16:17], v[16:17], v[31:32], v[29:30]
	s_cbranch_scc1 .LBB43_17
.LBB43_8:                               ; =>This Inner Loop Header: Depth=1
	s_and_saveexec_b64 s[16:17], s[24:25]
	s_xor_b64 s[16:17], exec, s[16:17]
; %bb.9:                                ;   in Loop: Header=BB43_8 Depth=1
	v_mov_b32_e32 v11, v10
	v_mov_b32_e32 v12, v10
	;; [unrolled: 1-line block ×3, first 2 shown]
	ds_write_b128 v24, v[10:13]
; %bb.10:                               ;   in Loop: Header=BB43_8 Depth=1
	s_andn2_saveexec_b64 s[16:17], s[16:17]
	s_cbranch_execz .LBB43_15
; %bb.11:                               ;   in Loop: Header=BB43_8 Depth=1
	s_load_dword s7, s[12:13], 0x0
	s_mov_b64 s[34:35], -1
	s_and_b64 vcc, exec, s[28:29]
	s_waitcnt lgkmcnt(0)
	s_sub_i32 s7, s7, s20
	s_lshl_b32 s30, s7, 1
	s_cbranch_vccz .LBB43_13
; %bb.12:                               ;   in Loop: Header=BB43_8 Depth=1
	v_or_b32_e32 v11, s30, v0
	v_mul_lo_u32 v13, s9, v11
	v_mad_u64_u32 v[11:12], s[34:35], s8, v11, 0
	s_ashr_i32 s7, s30, 31
	s_mul_i32 s7, s8, s7
	v_add3_u32 v12, v12, s7, v13
	v_lshlrev_b64 v[11:12], 4, v[11:12]
	s_mov_b64 s[34:35], 0
	v_add_co_u32_e32 v11, vcc, v22, v11
	v_addc_co_u32_e32 v12, vcc, v23, v12, vcc
	global_load_dwordx4 v[29:32], v[11:12], off
	s_waitcnt vmcnt(0)
	ds_write2_b64 v24, v[29:30], v[31:32] offset1:1
.LBB43_13:                              ;   in Loop: Header=BB43_8 Depth=1
	s_andn2_b64 vcc, exec, s[34:35]
	s_cbranch_vccnz .LBB43_15
; %bb.14:                               ;   in Loop: Header=BB43_8 Depth=1
	s_ashr_i32 s31, s30, 31
	s_lshl_b64 s[30:31], s[30:31], 4
	v_mov_b32_e32 v12, s31
	v_add_co_u32_e32 v11, vcc, s30, v25
	v_addc_co_u32_e32 v12, vcc, v26, v12, vcc
	global_load_dwordx4 v[29:32], v[11:12], off
	s_waitcnt vmcnt(0)
	ds_write2_b64 v24, v[29:30], v[31:32] offset1:1
.LBB43_15:                              ;   in Loop: Header=BB43_8 Depth=1
	s_or_b64 exec, exec, s[16:17]
	s_and_saveexec_b64 s[16:17], s[26:27]
	s_cbranch_execz .LBB43_7
; %bb.16:                               ;   in Loop: Header=BB43_8 Depth=1
	v_ashrrev_i32_e32 v21, 31, v20
	v_lshlrev_b64 v[11:12], 4, v[20:21]
	v_mov_b32_e32 v13, s15
	v_add_co_u32_e32 v11, vcc, s14, v11
	v_addc_co_u32_e32 v12, vcc, v13, v12, vcc
	global_load_dwordx4 v[29:32], v[11:12], off
	s_waitcnt vmcnt(0)
	ds_write2_b64 v27, v[29:30], v[31:32] offset1:1
	s_branch .LBB43_7
.LBB43_17:
	s_and_b64 s[0:1], s[22:23], s[0:1]
	s_and_b64 s[0:1], s[0:1], s[2:3]
	s_and_b64 exec, exec, s[0:1]
	s_cbranch_execz .LBB43_22
; %bb.18:
	v_mul_f64 v[10:11], v[16:17], -v[8:9]
	v_mul_f64 v[12:13], v[6:7], v[16:17]
	s_load_dwordx2 s[2:3], s[4:5], 0x68
	v_cmp_neq_f64_e32 vcc, 0, v[2:3]
	v_cmp_neq_f64_e64 s[0:1], 0, v[4:5]
	s_waitcnt lgkmcnt(0)
	v_mul_lo_u32 v16, s3, v14
	v_fma_f64 v[6:7], v[6:7], v[18:19], v[10:11]
	v_fma_f64 v[8:9], v[8:9], v[18:19], v[12:13]
	v_mul_lo_u32 v17, s2, v15
	v_mad_u64_u32 v[14:15], s[2:3], s2, v14, 0
	v_mad_u64_u32 v[0:1], s[2:3], s6, 3, v[0:1]
	v_add3_u32 v15, v15, v17, v16
	v_lshlrev_b64 v[10:11], 4, v[14:15]
	s_or_b64 s[0:1], vcc, s[0:1]
	v_ashrrev_i32_e32 v1, 31, v0
	s_and_saveexec_b64 s[2:3], s[0:1]
	s_xor_b64 s[0:1], exec, s[2:3]
	s_cbranch_execz .LBB43_20
; %bb.19:
	v_mov_b32_e32 v12, s11
	v_add_co_u32_e32 v10, vcc, s10, v10
	v_lshlrev_b64 v[0:1], 4, v[0:1]
	v_addc_co_u32_e32 v11, vcc, v12, v11, vcc
	v_add_co_u32_e32 v14, vcc, v10, v0
	v_addc_co_u32_e32 v15, vcc, v11, v1, vcc
	global_load_dwordx4 v[10:13], v[14:15], off
	s_waitcnt vmcnt(0)
	v_fma_f64 v[0:1], v[2:3], v[10:11], v[6:7]
	v_fma_f64 v[6:7], v[4:5], v[10:11], v[8:9]
                                        ; implicit-def: $vgpr10_vgpr11
	v_fma_f64 v[0:1], -v[4:5], v[12:13], v[0:1]
	v_fma_f64 v[2:3], v[2:3], v[12:13], v[6:7]
                                        ; implicit-def: $vgpr6_vgpr7
	global_store_dwordx4 v[14:15], v[0:3], off
                                        ; implicit-def: $vgpr0_vgpr1
.LBB43_20:
	s_andn2_saveexec_b64 s[0:1], s[0:1]
	s_cbranch_execz .LBB43_22
; %bb.21:
	v_mov_b32_e32 v2, s11
	v_add_co_u32_e32 v3, vcc, s10, v10
	v_lshlrev_b64 v[0:1], 4, v[0:1]
	v_addc_co_u32_e32 v2, vcc, v2, v11, vcc
	v_add_co_u32_e32 v0, vcc, v3, v0
	v_addc_co_u32_e32 v1, vcc, v2, v1, vcc
	global_store_dwordx4 v[0:1], v[6:9], off
.LBB43_22:
	s_endpgm
	.section	.rodata,"a",@progbits
	.p2align	6, 0x0
	.amdhsa_kernel _ZN9rocsparseL29gebsrmm_small_blockdim_kernelILi3ELi2ELi3ELi16E21rocsparse_complex_numIdEEEv20rocsparse_direction_20rocsparse_operation_iiNS_24const_host_device_scalarIT3_EEPKiS9_PKS6_iiSB_lS7_PS6_l21rocsparse_index_base_b
		.amdhsa_group_segment_fixed_size 912
		.amdhsa_private_segment_fixed_size 0
		.amdhsa_kernarg_size 120
		.amdhsa_user_sgpr_count 6
		.amdhsa_user_sgpr_private_segment_buffer 1
		.amdhsa_user_sgpr_dispatch_ptr 0
		.amdhsa_user_sgpr_queue_ptr 0
		.amdhsa_user_sgpr_kernarg_segment_ptr 1
		.amdhsa_user_sgpr_dispatch_id 0
		.amdhsa_user_sgpr_flat_scratch_init 0
		.amdhsa_user_sgpr_private_segment_size 0
		.amdhsa_uses_dynamic_stack 0
		.amdhsa_system_sgpr_private_segment_wavefront_offset 0
		.amdhsa_system_sgpr_workgroup_id_x 1
		.amdhsa_system_sgpr_workgroup_id_y 1
		.amdhsa_system_sgpr_workgroup_id_z 0
		.amdhsa_system_sgpr_workgroup_info 0
		.amdhsa_system_vgpr_workitem_id 1
		.amdhsa_next_free_vgpr 37
		.amdhsa_next_free_sgpr 36
		.amdhsa_reserve_vcc 1
		.amdhsa_reserve_flat_scratch 0
		.amdhsa_float_round_mode_32 0
		.amdhsa_float_round_mode_16_64 0
		.amdhsa_float_denorm_mode_32 3
		.amdhsa_float_denorm_mode_16_64 3
		.amdhsa_dx10_clamp 1
		.amdhsa_ieee_mode 1
		.amdhsa_fp16_overflow 0
		.amdhsa_exception_fp_ieee_invalid_op 0
		.amdhsa_exception_fp_denorm_src 0
		.amdhsa_exception_fp_ieee_div_zero 0
		.amdhsa_exception_fp_ieee_overflow 0
		.amdhsa_exception_fp_ieee_underflow 0
		.amdhsa_exception_fp_ieee_inexact 0
		.amdhsa_exception_int_div_zero 0
	.end_amdhsa_kernel
	.section	.text._ZN9rocsparseL29gebsrmm_small_blockdim_kernelILi3ELi2ELi3ELi16E21rocsparse_complex_numIdEEEv20rocsparse_direction_20rocsparse_operation_iiNS_24const_host_device_scalarIT3_EEPKiS9_PKS6_iiSB_lS7_PS6_l21rocsparse_index_base_b,"axG",@progbits,_ZN9rocsparseL29gebsrmm_small_blockdim_kernelILi3ELi2ELi3ELi16E21rocsparse_complex_numIdEEEv20rocsparse_direction_20rocsparse_operation_iiNS_24const_host_device_scalarIT3_EEPKiS9_PKS6_iiSB_lS7_PS6_l21rocsparse_index_base_b,comdat
.Lfunc_end43:
	.size	_ZN9rocsparseL29gebsrmm_small_blockdim_kernelILi3ELi2ELi3ELi16E21rocsparse_complex_numIdEEEv20rocsparse_direction_20rocsparse_operation_iiNS_24const_host_device_scalarIT3_EEPKiS9_PKS6_iiSB_lS7_PS6_l21rocsparse_index_base_b, .Lfunc_end43-_ZN9rocsparseL29gebsrmm_small_blockdim_kernelILi3ELi2ELi3ELi16E21rocsparse_complex_numIdEEEv20rocsparse_direction_20rocsparse_operation_iiNS_24const_host_device_scalarIT3_EEPKiS9_PKS6_iiSB_lS7_PS6_l21rocsparse_index_base_b
                                        ; -- End function
	.set _ZN9rocsparseL29gebsrmm_small_blockdim_kernelILi3ELi2ELi3ELi16E21rocsparse_complex_numIdEEEv20rocsparse_direction_20rocsparse_operation_iiNS_24const_host_device_scalarIT3_EEPKiS9_PKS6_iiSB_lS7_PS6_l21rocsparse_index_base_b.num_vgpr, 37
	.set _ZN9rocsparseL29gebsrmm_small_blockdim_kernelILi3ELi2ELi3ELi16E21rocsparse_complex_numIdEEEv20rocsparse_direction_20rocsparse_operation_iiNS_24const_host_device_scalarIT3_EEPKiS9_PKS6_iiSB_lS7_PS6_l21rocsparse_index_base_b.num_agpr, 0
	.set _ZN9rocsparseL29gebsrmm_small_blockdim_kernelILi3ELi2ELi3ELi16E21rocsparse_complex_numIdEEEv20rocsparse_direction_20rocsparse_operation_iiNS_24const_host_device_scalarIT3_EEPKiS9_PKS6_iiSB_lS7_PS6_l21rocsparse_index_base_b.numbered_sgpr, 36
	.set _ZN9rocsparseL29gebsrmm_small_blockdim_kernelILi3ELi2ELi3ELi16E21rocsparse_complex_numIdEEEv20rocsparse_direction_20rocsparse_operation_iiNS_24const_host_device_scalarIT3_EEPKiS9_PKS6_iiSB_lS7_PS6_l21rocsparse_index_base_b.num_named_barrier, 0
	.set _ZN9rocsparseL29gebsrmm_small_blockdim_kernelILi3ELi2ELi3ELi16E21rocsparse_complex_numIdEEEv20rocsparse_direction_20rocsparse_operation_iiNS_24const_host_device_scalarIT3_EEPKiS9_PKS6_iiSB_lS7_PS6_l21rocsparse_index_base_b.private_seg_size, 0
	.set _ZN9rocsparseL29gebsrmm_small_blockdim_kernelILi3ELi2ELi3ELi16E21rocsparse_complex_numIdEEEv20rocsparse_direction_20rocsparse_operation_iiNS_24const_host_device_scalarIT3_EEPKiS9_PKS6_iiSB_lS7_PS6_l21rocsparse_index_base_b.uses_vcc, 1
	.set _ZN9rocsparseL29gebsrmm_small_blockdim_kernelILi3ELi2ELi3ELi16E21rocsparse_complex_numIdEEEv20rocsparse_direction_20rocsparse_operation_iiNS_24const_host_device_scalarIT3_EEPKiS9_PKS6_iiSB_lS7_PS6_l21rocsparse_index_base_b.uses_flat_scratch, 0
	.set _ZN9rocsparseL29gebsrmm_small_blockdim_kernelILi3ELi2ELi3ELi16E21rocsparse_complex_numIdEEEv20rocsparse_direction_20rocsparse_operation_iiNS_24const_host_device_scalarIT3_EEPKiS9_PKS6_iiSB_lS7_PS6_l21rocsparse_index_base_b.has_dyn_sized_stack, 0
	.set _ZN9rocsparseL29gebsrmm_small_blockdim_kernelILi3ELi2ELi3ELi16E21rocsparse_complex_numIdEEEv20rocsparse_direction_20rocsparse_operation_iiNS_24const_host_device_scalarIT3_EEPKiS9_PKS6_iiSB_lS7_PS6_l21rocsparse_index_base_b.has_recursion, 0
	.set _ZN9rocsparseL29gebsrmm_small_blockdim_kernelILi3ELi2ELi3ELi16E21rocsparse_complex_numIdEEEv20rocsparse_direction_20rocsparse_operation_iiNS_24const_host_device_scalarIT3_EEPKiS9_PKS6_iiSB_lS7_PS6_l21rocsparse_index_base_b.has_indirect_call, 0
	.section	.AMDGPU.csdata,"",@progbits
; Kernel info:
; codeLenInByte = 1208
; TotalNumSgprs: 40
; NumVgprs: 37
; ScratchSize: 0
; MemoryBound: 0
; FloatMode: 240
; IeeeMode: 1
; LDSByteSize: 912 bytes/workgroup (compile time only)
; SGPRBlocks: 4
; VGPRBlocks: 9
; NumSGPRsForWavesPerEU: 40
; NumVGPRsForWavesPerEU: 37
; Occupancy: 6
; WaveLimiterHint : 0
; COMPUTE_PGM_RSRC2:SCRATCH_EN: 0
; COMPUTE_PGM_RSRC2:USER_SGPR: 6
; COMPUTE_PGM_RSRC2:TRAP_HANDLER: 0
; COMPUTE_PGM_RSRC2:TGID_X_EN: 1
; COMPUTE_PGM_RSRC2:TGID_Y_EN: 1
; COMPUTE_PGM_RSRC2:TGID_Z_EN: 0
; COMPUTE_PGM_RSRC2:TIDIG_COMP_CNT: 1
	.section	.text._ZN9rocsparseL29gebsrmm_small_blockdim_kernelILi3ELi4ELi4ELi16E21rocsparse_complex_numIdEEEv20rocsparse_direction_20rocsparse_operation_iiNS_24const_host_device_scalarIT3_EEPKiS9_PKS6_iiSB_lS7_PS6_l21rocsparse_index_base_b,"axG",@progbits,_ZN9rocsparseL29gebsrmm_small_blockdim_kernelILi3ELi4ELi4ELi16E21rocsparse_complex_numIdEEEv20rocsparse_direction_20rocsparse_operation_iiNS_24const_host_device_scalarIT3_EEPKiS9_PKS6_iiSB_lS7_PS6_l21rocsparse_index_base_b,comdat
	.globl	_ZN9rocsparseL29gebsrmm_small_blockdim_kernelILi3ELi4ELi4ELi16E21rocsparse_complex_numIdEEEv20rocsparse_direction_20rocsparse_operation_iiNS_24const_host_device_scalarIT3_EEPKiS9_PKS6_iiSB_lS7_PS6_l21rocsparse_index_base_b ; -- Begin function _ZN9rocsparseL29gebsrmm_small_blockdim_kernelILi3ELi4ELi4ELi16E21rocsparse_complex_numIdEEEv20rocsparse_direction_20rocsparse_operation_iiNS_24const_host_device_scalarIT3_EEPKiS9_PKS6_iiSB_lS7_PS6_l21rocsparse_index_base_b
	.p2align	8
	.type	_ZN9rocsparseL29gebsrmm_small_blockdim_kernelILi3ELi4ELi4ELi16E21rocsparse_complex_numIdEEEv20rocsparse_direction_20rocsparse_operation_iiNS_24const_host_device_scalarIT3_EEPKiS9_PKS6_iiSB_lS7_PS6_l21rocsparse_index_base_b,@function
_ZN9rocsparseL29gebsrmm_small_blockdim_kernelILi3ELi4ELi4ELi16E21rocsparse_complex_numIdEEEv20rocsparse_direction_20rocsparse_operation_iiNS_24const_host_device_scalarIT3_EEPKiS9_PKS6_iiSB_lS7_PS6_l21rocsparse_index_base_b: ; @_ZN9rocsparseL29gebsrmm_small_blockdim_kernelILi3ELi4ELi4ELi16E21rocsparse_complex_numIdEEEv20rocsparse_direction_20rocsparse_operation_iiNS_24const_host_device_scalarIT3_EEPKiS9_PKS6_iiSB_lS7_PS6_l21rocsparse_index_base_b
; %bb.0:
	s_load_dwordx2 s[0:1], s[4:5], 0x10
	s_load_dwordx4 s[8:11], s[4:5], 0x48
	s_load_dwordx2 s[20:21], s[4:5], 0x70
	s_add_u32 s2, s4, 16
	s_addc_u32 s3, s5, 0
	s_add_u32 s12, s4, 0x50
	s_addc_u32 s13, s5, 0
	s_waitcnt lgkmcnt(0)
	s_bitcmp1_b32 s21, 0
	s_cselect_b32 s1, s3, s1
	s_cselect_b32 s0, s2, s0
	v_mov_b32_e32 v2, s0
	v_mov_b32_e32 v3, s1
	flat_load_dwordx4 v[6:9], v[2:3]
	s_cselect_b32 s0, s13, s11
	s_cselect_b32 s1, s12, s10
	v_mov_b32_e32 v2, s1
	v_mov_b32_e32 v3, s0
	flat_load_dwordx4 v[2:5], v[2:3]
	s_waitcnt vmcnt(0) lgkmcnt(0)
	v_cmp_eq_f64_e32 vcc, 0, v[6:7]
	v_cmp_eq_f64_e64 s[0:1], 0, v[8:9]
	s_and_b64 s[10:11], vcc, s[0:1]
	s_mov_b64 s[0:1], -1
	s_and_saveexec_b64 s[2:3], s[10:11]
	s_cbranch_execz .LBB44_2
; %bb.1:
	v_cmp_neq_f64_e32 vcc, 1.0, v[2:3]
	v_cmp_neq_f64_e64 s[0:1], 0, v[4:5]
	s_or_b64 s[0:1], vcc, s[0:1]
	s_orn2_b64 s[0:1], s[0:1], exec
.LBB44_2:
	s_or_b64 exec, exec, s[2:3]
	s_and_saveexec_b64 s[2:3], s[0:1]
	s_cbranch_execz .LBB44_22
; %bb.3:
	s_load_dwordx4 s[16:19], s[4:5], 0x0
	s_mov_b32 s21, 0
	s_waitcnt lgkmcnt(0)
	s_cmp_lt_i32 s6, s18
	s_cselect_b64 s[22:23], -1, 0
	s_cmp_ge_i32 s6, s18
	s_mov_b32 s18, 0
	s_cbranch_scc1 .LBB44_5
; %bb.4:
	s_load_dwordx2 s[2:3], s[4:5], 0x20
	s_mov_b32 s0, s7
	s_ashr_i32 s7, s6, 31
	s_lshl_b64 s[10:11], s[6:7], 2
	s_mov_b32 s7, s0
	s_waitcnt lgkmcnt(0)
	s_add_u32 s0, s2, s10
	s_addc_u32 s1, s3, s11
	s_load_dwordx2 s[2:3], s[0:1], 0x0
	s_waitcnt lgkmcnt(0)
	s_sub_i32 s18, s2, s20
	s_sub_i32 s21, s3, s20
.LBB44_5:
	s_load_dwordx2 s[10:11], s[4:5], 0x60
	v_lshl_add_u32 v14, s7, 4, v1
	v_mov_b32_e32 v18, 0
	v_mov_b32_e32 v20, 0
	v_ashrrev_i32_e32 v15, 31, v14
	v_cmp_gt_i32_e64 s[0:1], s19, v14
	v_mov_b32_e32 v19, 0
	s_cmp_ge_i32 s18, s21
	v_mov_b32_e32 v21, 0
	v_cmp_gt_u32_e64 s[2:3], 3, v0
	s_cbranch_scc1 .LBB44_17
; %bb.6:
	s_load_dwordx4 s[12:15], s[4:5], 0x28
	s_load_dwordx2 s[30:31], s[4:5], 0x40
	v_mul_lo_u32 v17, s9, v14
	v_mul_lo_u32 v18, s8, v15
	v_mad_u64_u32 v[12:13], s[28:29], s8, v14, 0
	v_cmp_lt_u32_e32 vcc, 3, v0
	s_xor_b64 s[24:25], s[0:1], -1
	v_lshlrev_b64 v[10:11], 4, v[14:15]
	s_or_b64 s[24:25], s[24:25], vcc
	v_cmp_gt_u32_e32 vcc, 4, v1
	s_and_b64 s[26:27], s[2:3], vcc
	s_waitcnt lgkmcnt(0)
	v_mov_b32_e32 v16, s31
	v_add_co_u32_e32 v22, vcc, s30, v10
	v_add3_u32 v13, v13, v18, v17
	v_addc_co_u32_e32 v23, vcc, v16, v11, vcc
	v_lshlrev_b64 v[10:11], 4, v[12:13]
	v_mov_b32_e32 v12, s31
	v_add_co_u32_e32 v10, vcc, s30, v10
	v_addc_co_u32_e32 v11, vcc, v12, v11, vcc
	v_lshlrev_b32_e32 v12, 4, v0
	s_cmpk_lg_i32 s17, 0x6f
	v_add_co_u32_e32 v25, vcc, v10, v12
	s_cselect_b64 s[28:29], -1, 0
	v_addc_co_u32_e32 v26, vcc, 0, v11, vcc
	s_cmp_eq_u32 s16, 0
	v_lshl_add_u32 v16, v1, 2, v0
	s_cselect_b64 vcc, -1, 0
	s_ashr_i32 s19, s18, 31
	v_sub_u32_e32 v10, v16, v1
	v_lshl_add_u32 v11, v0, 2, v1
	s_lshl_b64 s[16:17], s[18:19], 2
	v_cndmask_b32_e32 v10, v10, v11, vcc
	s_add_u32 s12, s12, s16
	v_lshlrev_b32_e32 v24, 4, v16
	s_addc_u32 s13, s13, s17
	v_mad_u64_u32 v[16:17], s[16:17], s18, 12, v[10:11]
	v_mov_b32_e32 v18, 0
	v_mov_b32_e32 v20, 0
	v_add_u32_e32 v27, 0x400, v24
	v_add_u32_e32 v28, 0x400, v12
	v_lshlrev_b32_e32 v1, 6, v1
	v_mov_b32_e32 v19, 0
	v_mov_b32_e32 v21, 0
	v_mov_b32_e32 v10, 0
	s_branch .LBB44_8
.LBB44_7:                               ;   in Loop: Header=BB44_8 Depth=1
	s_or_b64 exec, exec, s[16:17]
	s_waitcnt lgkmcnt(0)
	; wave barrier
	ds_read_b128 v[29:32], v28
	ds_read_b128 v[33:36], v1
	s_add_i32 s18, s18, 1
	s_add_u32 s12, s12, 4
	s_addc_u32 s13, s13, 0
	s_cmp_ge_i32 s18, s21
	s_waitcnt lgkmcnt(0)
	v_fma_f64 v[11:12], v[29:30], v[33:34], v[20:21]
	v_fma_f64 v[17:18], v[31:32], v[33:34], v[18:19]
	v_add_u32_e32 v16, 12, v16
	v_fma_f64 v[11:12], -v[31:32], v[35:36], v[11:12]
	v_fma_f64 v[33:34], v[29:30], v[35:36], v[17:18]
	ds_read_b128 v[17:20], v1 offset:16
	ds_read_b128 v[29:32], v28 offset:64
	s_waitcnt lgkmcnt(0)
	v_fma_f64 v[11:12], v[29:30], v[17:18], v[11:12]
	v_fma_f64 v[17:18], v[31:32], v[17:18], v[33:34]
	v_fma_f64 v[11:12], -v[31:32], v[19:20], v[11:12]
	v_fma_f64 v[33:34], v[29:30], v[19:20], v[17:18]
	ds_read_b128 v[17:20], v28 offset:128
	ds_read_b128 v[29:32], v1 offset:32
	s_waitcnt lgkmcnt(0)
	v_fma_f64 v[11:12], v[17:18], v[29:30], v[11:12]
	v_fma_f64 v[29:30], v[19:20], v[29:30], v[33:34]
	v_fma_f64 v[11:12], -v[19:20], v[31:32], v[11:12]
	v_fma_f64 v[33:34], v[17:18], v[31:32], v[29:30]
	ds_read_b128 v[29:32], v1 offset:48
	ds_read_b128 v[17:20], v28 offset:192
	s_waitcnt lgkmcnt(0)
	; wave barrier
	v_fma_f64 v[11:12], v[17:18], v[29:30], v[11:12]
	v_fma_f64 v[29:30], v[19:20], v[29:30], v[33:34]
	v_fma_f64 v[20:21], -v[19:20], v[31:32], v[11:12]
	v_fma_f64 v[18:19], v[17:18], v[31:32], v[29:30]
	s_cbranch_scc1 .LBB44_17
.LBB44_8:                               ; =>This Inner Loop Header: Depth=1
	s_and_saveexec_b64 s[16:17], s[24:25]
	s_xor_b64 s[16:17], exec, s[16:17]
; %bb.9:                                ;   in Loop: Header=BB44_8 Depth=1
	v_mov_b32_e32 v11, v10
	v_mov_b32_e32 v12, v10
	v_mov_b32_e32 v13, v10
	ds_write_b128 v24, v[10:13]
; %bb.10:                               ;   in Loop: Header=BB44_8 Depth=1
	s_andn2_saveexec_b64 s[16:17], s[16:17]
	s_cbranch_execz .LBB44_15
; %bb.11:                               ;   in Loop: Header=BB44_8 Depth=1
	s_load_dword s7, s[12:13], 0x0
	s_mov_b64 s[34:35], -1
	s_and_b64 vcc, exec, s[28:29]
	s_waitcnt lgkmcnt(0)
	s_sub_i32 s7, s7, s20
	s_lshl_b32 s30, s7, 2
	s_cbranch_vccz .LBB44_13
; %bb.12:                               ;   in Loop: Header=BB44_8 Depth=1
	v_or_b32_e32 v11, s30, v0
	v_mul_lo_u32 v13, s9, v11
	v_mad_u64_u32 v[11:12], s[34:35], s8, v11, 0
	s_ashr_i32 s7, s30, 31
	s_mul_i32 s7, s8, s7
	v_add3_u32 v12, v12, s7, v13
	v_lshlrev_b64 v[11:12], 4, v[11:12]
	s_mov_b64 s[34:35], 0
	v_add_co_u32_e32 v11, vcc, v22, v11
	v_addc_co_u32_e32 v12, vcc, v23, v12, vcc
	global_load_dwordx4 v[29:32], v[11:12], off
	s_waitcnt vmcnt(0)
	ds_write2_b64 v24, v[29:30], v[31:32] offset1:1
.LBB44_13:                              ;   in Loop: Header=BB44_8 Depth=1
	s_andn2_b64 vcc, exec, s[34:35]
	s_cbranch_vccnz .LBB44_15
; %bb.14:                               ;   in Loop: Header=BB44_8 Depth=1
	s_ashr_i32 s31, s30, 31
	s_lshl_b64 s[30:31], s[30:31], 4
	v_mov_b32_e32 v12, s31
	v_add_co_u32_e32 v11, vcc, s30, v25
	v_addc_co_u32_e32 v12, vcc, v26, v12, vcc
	global_load_dwordx4 v[29:32], v[11:12], off
	s_waitcnt vmcnt(0)
	ds_write2_b64 v24, v[29:30], v[31:32] offset1:1
.LBB44_15:                              ;   in Loop: Header=BB44_8 Depth=1
	s_or_b64 exec, exec, s[16:17]
	s_and_saveexec_b64 s[16:17], s[26:27]
	s_cbranch_execz .LBB44_7
; %bb.16:                               ;   in Loop: Header=BB44_8 Depth=1
	v_ashrrev_i32_e32 v17, 31, v16
	v_lshlrev_b64 v[11:12], 4, v[16:17]
	v_mov_b32_e32 v13, s15
	v_add_co_u32_e32 v11, vcc, s14, v11
	v_addc_co_u32_e32 v12, vcc, v13, v12, vcc
	global_load_dwordx4 v[29:32], v[11:12], off
	s_waitcnt vmcnt(0)
	ds_write2_b64 v27, v[29:30], v[31:32] offset1:1
	s_branch .LBB44_7
.LBB44_17:
	s_and_b64 s[0:1], s[22:23], s[0:1]
	s_and_b64 s[0:1], s[0:1], s[2:3]
	s_and_b64 exec, exec, s[0:1]
	s_cbranch_execz .LBB44_22
; %bb.18:
	v_mul_f64 v[10:11], v[18:19], -v[8:9]
	v_mul_f64 v[12:13], v[6:7], v[18:19]
	s_load_dwordx2 s[2:3], s[4:5], 0x68
	v_cmp_neq_f64_e32 vcc, 0, v[2:3]
	v_cmp_neq_f64_e64 s[0:1], 0, v[4:5]
	s_waitcnt lgkmcnt(0)
	v_mul_lo_u32 v16, s3, v14
	v_fma_f64 v[6:7], v[6:7], v[20:21], v[10:11]
	v_fma_f64 v[8:9], v[8:9], v[20:21], v[12:13]
	v_mul_lo_u32 v17, s2, v15
	v_mad_u64_u32 v[14:15], s[2:3], s2, v14, 0
	v_mad_u64_u32 v[0:1], s[2:3], s6, 3, v[0:1]
	v_add3_u32 v15, v15, v17, v16
	v_lshlrev_b64 v[10:11], 4, v[14:15]
	s_or_b64 s[0:1], vcc, s[0:1]
	v_ashrrev_i32_e32 v1, 31, v0
	s_and_saveexec_b64 s[2:3], s[0:1]
	s_xor_b64 s[0:1], exec, s[2:3]
	s_cbranch_execz .LBB44_20
; %bb.19:
	v_mov_b32_e32 v12, s11
	v_add_co_u32_e32 v10, vcc, s10, v10
	v_lshlrev_b64 v[0:1], 4, v[0:1]
	v_addc_co_u32_e32 v11, vcc, v12, v11, vcc
	v_add_co_u32_e32 v14, vcc, v10, v0
	v_addc_co_u32_e32 v15, vcc, v11, v1, vcc
	global_load_dwordx4 v[10:13], v[14:15], off
	s_waitcnt vmcnt(0)
	v_fma_f64 v[0:1], v[2:3], v[10:11], v[6:7]
	v_fma_f64 v[6:7], v[4:5], v[10:11], v[8:9]
                                        ; implicit-def: $vgpr10_vgpr11
	v_fma_f64 v[0:1], -v[4:5], v[12:13], v[0:1]
	v_fma_f64 v[2:3], v[2:3], v[12:13], v[6:7]
                                        ; implicit-def: $vgpr6_vgpr7
	global_store_dwordx4 v[14:15], v[0:3], off
                                        ; implicit-def: $vgpr0_vgpr1
.LBB44_20:
	s_andn2_saveexec_b64 s[0:1], s[0:1]
	s_cbranch_execz .LBB44_22
; %bb.21:
	v_mov_b32_e32 v2, s11
	v_add_co_u32_e32 v3, vcc, s10, v10
	v_lshlrev_b64 v[0:1], 4, v[0:1]
	v_addc_co_u32_e32 v2, vcc, v2, v11, vcc
	v_add_co_u32_e32 v0, vcc, v3, v0
	v_addc_co_u32_e32 v1, vcc, v2, v1, vcc
	global_store_dwordx4 v[0:1], v[6:9], off
.LBB44_22:
	s_endpgm
	.section	.rodata,"a",@progbits
	.p2align	6, 0x0
	.amdhsa_kernel _ZN9rocsparseL29gebsrmm_small_blockdim_kernelILi3ELi4ELi4ELi16E21rocsparse_complex_numIdEEEv20rocsparse_direction_20rocsparse_operation_iiNS_24const_host_device_scalarIT3_EEPKiS9_PKS6_iiSB_lS7_PS6_l21rocsparse_index_base_b
		.amdhsa_group_segment_fixed_size 1280
		.amdhsa_private_segment_fixed_size 0
		.amdhsa_kernarg_size 120
		.amdhsa_user_sgpr_count 6
		.amdhsa_user_sgpr_private_segment_buffer 1
		.amdhsa_user_sgpr_dispatch_ptr 0
		.amdhsa_user_sgpr_queue_ptr 0
		.amdhsa_user_sgpr_kernarg_segment_ptr 1
		.amdhsa_user_sgpr_dispatch_id 0
		.amdhsa_user_sgpr_flat_scratch_init 0
		.amdhsa_user_sgpr_private_segment_size 0
		.amdhsa_uses_dynamic_stack 0
		.amdhsa_system_sgpr_private_segment_wavefront_offset 0
		.amdhsa_system_sgpr_workgroup_id_x 1
		.amdhsa_system_sgpr_workgroup_id_y 1
		.amdhsa_system_sgpr_workgroup_id_z 0
		.amdhsa_system_sgpr_workgroup_info 0
		.amdhsa_system_vgpr_workitem_id 1
		.amdhsa_next_free_vgpr 37
		.amdhsa_next_free_sgpr 36
		.amdhsa_reserve_vcc 1
		.amdhsa_reserve_flat_scratch 0
		.amdhsa_float_round_mode_32 0
		.amdhsa_float_round_mode_16_64 0
		.amdhsa_float_denorm_mode_32 3
		.amdhsa_float_denorm_mode_16_64 3
		.amdhsa_dx10_clamp 1
		.amdhsa_ieee_mode 1
		.amdhsa_fp16_overflow 0
		.amdhsa_exception_fp_ieee_invalid_op 0
		.amdhsa_exception_fp_denorm_src 0
		.amdhsa_exception_fp_ieee_div_zero 0
		.amdhsa_exception_fp_ieee_overflow 0
		.amdhsa_exception_fp_ieee_underflow 0
		.amdhsa_exception_fp_ieee_inexact 0
		.amdhsa_exception_int_div_zero 0
	.end_amdhsa_kernel
	.section	.text._ZN9rocsparseL29gebsrmm_small_blockdim_kernelILi3ELi4ELi4ELi16E21rocsparse_complex_numIdEEEv20rocsparse_direction_20rocsparse_operation_iiNS_24const_host_device_scalarIT3_EEPKiS9_PKS6_iiSB_lS7_PS6_l21rocsparse_index_base_b,"axG",@progbits,_ZN9rocsparseL29gebsrmm_small_blockdim_kernelILi3ELi4ELi4ELi16E21rocsparse_complex_numIdEEEv20rocsparse_direction_20rocsparse_operation_iiNS_24const_host_device_scalarIT3_EEPKiS9_PKS6_iiSB_lS7_PS6_l21rocsparse_index_base_b,comdat
.Lfunc_end44:
	.size	_ZN9rocsparseL29gebsrmm_small_blockdim_kernelILi3ELi4ELi4ELi16E21rocsparse_complex_numIdEEEv20rocsparse_direction_20rocsparse_operation_iiNS_24const_host_device_scalarIT3_EEPKiS9_PKS6_iiSB_lS7_PS6_l21rocsparse_index_base_b, .Lfunc_end44-_ZN9rocsparseL29gebsrmm_small_blockdim_kernelILi3ELi4ELi4ELi16E21rocsparse_complex_numIdEEEv20rocsparse_direction_20rocsparse_operation_iiNS_24const_host_device_scalarIT3_EEPKiS9_PKS6_iiSB_lS7_PS6_l21rocsparse_index_base_b
                                        ; -- End function
	.set _ZN9rocsparseL29gebsrmm_small_blockdim_kernelILi3ELi4ELi4ELi16E21rocsparse_complex_numIdEEEv20rocsparse_direction_20rocsparse_operation_iiNS_24const_host_device_scalarIT3_EEPKiS9_PKS6_iiSB_lS7_PS6_l21rocsparse_index_base_b.num_vgpr, 37
	.set _ZN9rocsparseL29gebsrmm_small_blockdim_kernelILi3ELi4ELi4ELi16E21rocsparse_complex_numIdEEEv20rocsparse_direction_20rocsparse_operation_iiNS_24const_host_device_scalarIT3_EEPKiS9_PKS6_iiSB_lS7_PS6_l21rocsparse_index_base_b.num_agpr, 0
	.set _ZN9rocsparseL29gebsrmm_small_blockdim_kernelILi3ELi4ELi4ELi16E21rocsparse_complex_numIdEEEv20rocsparse_direction_20rocsparse_operation_iiNS_24const_host_device_scalarIT3_EEPKiS9_PKS6_iiSB_lS7_PS6_l21rocsparse_index_base_b.numbered_sgpr, 36
	.set _ZN9rocsparseL29gebsrmm_small_blockdim_kernelILi3ELi4ELi4ELi16E21rocsparse_complex_numIdEEEv20rocsparse_direction_20rocsparse_operation_iiNS_24const_host_device_scalarIT3_EEPKiS9_PKS6_iiSB_lS7_PS6_l21rocsparse_index_base_b.num_named_barrier, 0
	.set _ZN9rocsparseL29gebsrmm_small_blockdim_kernelILi3ELi4ELi4ELi16E21rocsparse_complex_numIdEEEv20rocsparse_direction_20rocsparse_operation_iiNS_24const_host_device_scalarIT3_EEPKiS9_PKS6_iiSB_lS7_PS6_l21rocsparse_index_base_b.private_seg_size, 0
	.set _ZN9rocsparseL29gebsrmm_small_blockdim_kernelILi3ELi4ELi4ELi16E21rocsparse_complex_numIdEEEv20rocsparse_direction_20rocsparse_operation_iiNS_24const_host_device_scalarIT3_EEPKiS9_PKS6_iiSB_lS7_PS6_l21rocsparse_index_base_b.uses_vcc, 1
	.set _ZN9rocsparseL29gebsrmm_small_blockdim_kernelILi3ELi4ELi4ELi16E21rocsparse_complex_numIdEEEv20rocsparse_direction_20rocsparse_operation_iiNS_24const_host_device_scalarIT3_EEPKiS9_PKS6_iiSB_lS7_PS6_l21rocsparse_index_base_b.uses_flat_scratch, 0
	.set _ZN9rocsparseL29gebsrmm_small_blockdim_kernelILi3ELi4ELi4ELi16E21rocsparse_complex_numIdEEEv20rocsparse_direction_20rocsparse_operation_iiNS_24const_host_device_scalarIT3_EEPKiS9_PKS6_iiSB_lS7_PS6_l21rocsparse_index_base_b.has_dyn_sized_stack, 0
	.set _ZN9rocsparseL29gebsrmm_small_blockdim_kernelILi3ELi4ELi4ELi16E21rocsparse_complex_numIdEEEv20rocsparse_direction_20rocsparse_operation_iiNS_24const_host_device_scalarIT3_EEPKiS9_PKS6_iiSB_lS7_PS6_l21rocsparse_index_base_b.has_recursion, 0
	.set _ZN9rocsparseL29gebsrmm_small_blockdim_kernelILi3ELi4ELi4ELi16E21rocsparse_complex_numIdEEEv20rocsparse_direction_20rocsparse_operation_iiNS_24const_host_device_scalarIT3_EEPKiS9_PKS6_iiSB_lS7_PS6_l21rocsparse_index_base_b.has_indirect_call, 0
	.section	.AMDGPU.csdata,"",@progbits
; Kernel info:
; codeLenInByte = 1312
; TotalNumSgprs: 40
; NumVgprs: 37
; ScratchSize: 0
; MemoryBound: 0
; FloatMode: 240
; IeeeMode: 1
; LDSByteSize: 1280 bytes/workgroup (compile time only)
; SGPRBlocks: 4
; VGPRBlocks: 9
; NumSGPRsForWavesPerEU: 40
; NumVGPRsForWavesPerEU: 37
; Occupancy: 6
; WaveLimiterHint : 0
; COMPUTE_PGM_RSRC2:SCRATCH_EN: 0
; COMPUTE_PGM_RSRC2:USER_SGPR: 6
; COMPUTE_PGM_RSRC2:TRAP_HANDLER: 0
; COMPUTE_PGM_RSRC2:TGID_X_EN: 1
; COMPUTE_PGM_RSRC2:TGID_Y_EN: 1
; COMPUTE_PGM_RSRC2:TGID_Z_EN: 0
; COMPUTE_PGM_RSRC2:TIDIG_COMP_CNT: 1
	.section	.text._ZN9rocsparseL29gebsrmm_small_blockdim_kernelILi4ELi1ELi4ELi16E21rocsparse_complex_numIdEEEv20rocsparse_direction_20rocsparse_operation_iiNS_24const_host_device_scalarIT3_EEPKiS9_PKS6_iiSB_lS7_PS6_l21rocsparse_index_base_b,"axG",@progbits,_ZN9rocsparseL29gebsrmm_small_blockdim_kernelILi4ELi1ELi4ELi16E21rocsparse_complex_numIdEEEv20rocsparse_direction_20rocsparse_operation_iiNS_24const_host_device_scalarIT3_EEPKiS9_PKS6_iiSB_lS7_PS6_l21rocsparse_index_base_b,comdat
	.globl	_ZN9rocsparseL29gebsrmm_small_blockdim_kernelILi4ELi1ELi4ELi16E21rocsparse_complex_numIdEEEv20rocsparse_direction_20rocsparse_operation_iiNS_24const_host_device_scalarIT3_EEPKiS9_PKS6_iiSB_lS7_PS6_l21rocsparse_index_base_b ; -- Begin function _ZN9rocsparseL29gebsrmm_small_blockdim_kernelILi4ELi1ELi4ELi16E21rocsparse_complex_numIdEEEv20rocsparse_direction_20rocsparse_operation_iiNS_24const_host_device_scalarIT3_EEPKiS9_PKS6_iiSB_lS7_PS6_l21rocsparse_index_base_b
	.p2align	8
	.type	_ZN9rocsparseL29gebsrmm_small_blockdim_kernelILi4ELi1ELi4ELi16E21rocsparse_complex_numIdEEEv20rocsparse_direction_20rocsparse_operation_iiNS_24const_host_device_scalarIT3_EEPKiS9_PKS6_iiSB_lS7_PS6_l21rocsparse_index_base_b,@function
_ZN9rocsparseL29gebsrmm_small_blockdim_kernelILi4ELi1ELi4ELi16E21rocsparse_complex_numIdEEEv20rocsparse_direction_20rocsparse_operation_iiNS_24const_host_device_scalarIT3_EEPKiS9_PKS6_iiSB_lS7_PS6_l21rocsparse_index_base_b: ; @_ZN9rocsparseL29gebsrmm_small_blockdim_kernelILi4ELi1ELi4ELi16E21rocsparse_complex_numIdEEEv20rocsparse_direction_20rocsparse_operation_iiNS_24const_host_device_scalarIT3_EEPKiS9_PKS6_iiSB_lS7_PS6_l21rocsparse_index_base_b
; %bb.0:
	s_load_dwordx2 s[0:1], s[4:5], 0x10
	s_load_dwordx4 s[8:11], s[4:5], 0x48
	s_load_dwordx2 s[20:21], s[4:5], 0x70
	s_add_u32 s2, s4, 16
	s_addc_u32 s3, s5, 0
	s_add_u32 s12, s4, 0x50
	s_addc_u32 s13, s5, 0
	s_waitcnt lgkmcnt(0)
	s_bitcmp1_b32 s21, 0
	s_cselect_b32 s1, s3, s1
	s_cselect_b32 s0, s2, s0
	v_mov_b32_e32 v2, s0
	v_mov_b32_e32 v3, s1
	flat_load_dwordx4 v[6:9], v[2:3]
	s_cselect_b32 s0, s13, s11
	s_cselect_b32 s1, s12, s10
	v_mov_b32_e32 v2, s1
	v_mov_b32_e32 v3, s0
	flat_load_dwordx4 v[2:5], v[2:3]
	s_waitcnt vmcnt(0) lgkmcnt(0)
	v_cmp_eq_f64_e32 vcc, 0, v[6:7]
	v_cmp_eq_f64_e64 s[0:1], 0, v[8:9]
	s_and_b64 s[10:11], vcc, s[0:1]
	s_mov_b64 s[0:1], -1
	s_and_saveexec_b64 s[2:3], s[10:11]
	s_cbranch_execz .LBB45_2
; %bb.1:
	v_cmp_neq_f64_e32 vcc, 1.0, v[2:3]
	v_cmp_neq_f64_e64 s[0:1], 0, v[4:5]
	s_or_b64 s[0:1], vcc, s[0:1]
	s_orn2_b64 s[0:1], s[0:1], exec
.LBB45_2:
	s_or_b64 exec, exec, s[2:3]
	s_and_saveexec_b64 s[2:3], s[0:1]
	s_cbranch_execz .LBB45_22
; %bb.3:
	s_load_dwordx4 s[16:19], s[4:5], 0x4
	s_mov_b32 s21, 0
	s_mov_b32 s24, 0
	s_waitcnt lgkmcnt(0)
	s_cmp_lt_i32 s6, s17
	s_cselect_b64 s[22:23], -1, 0
	s_cmp_ge_i32 s6, s17
	s_cbranch_scc1 .LBB45_5
; %bb.4:
	s_load_dwordx2 s[2:3], s[4:5], 0x20
	s_mov_b32 s0, s7
	s_ashr_i32 s7, s6, 31
	s_lshl_b64 s[10:11], s[6:7], 2
	s_mov_b32 s7, s0
	s_waitcnt lgkmcnt(0)
	s_add_u32 s0, s2, s10
	s_addc_u32 s1, s3, s11
	s_load_dwordx2 s[2:3], s[0:1], 0x0
	s_waitcnt lgkmcnt(0)
	s_sub_i32 s24, s2, s20
	s_sub_i32 s21, s3, s20
.LBB45_5:
	s_load_dwordx2 s[10:11], s[4:5], 0x60
	v_lshl_add_u32 v14, s7, 4, v1
	v_mov_b32_e32 v16, 0
	v_mov_b32_e32 v18, 0
	v_ashrrev_i32_e32 v15, 31, v14
	v_cmp_gt_i32_e64 s[0:1], s18, v14
	v_mov_b32_e32 v17, 0
	s_cmp_ge_i32 s24, s21
	v_mov_b32_e32 v19, 0
	v_cmp_gt_u32_e64 s[2:3], 4, v0
	s_cbranch_scc1 .LBB45_17
; %bb.6:
	s_load_dwordx4 s[12:15], s[4:5], 0x28
	s_load_dwordx2 s[28:29], s[4:5], 0x40
	v_mul_lo_u32 v17, s9, v14
	v_mul_lo_u32 v18, s8, v15
	v_mad_u64_u32 v[12:13], s[30:31], s8, v14, 0
	v_cmp_ne_u32_e32 vcc, 0, v0
	s_xor_b64 s[18:19], s[0:1], -1
	v_lshlrev_b64 v[10:11], 4, v[14:15]
	s_or_b64 s[18:19], vcc, s[18:19]
	v_cmp_eq_u32_e32 vcc, 0, v1
	s_and_b64 s[26:27], s[2:3], vcc
	s_waitcnt lgkmcnt(0)
	v_mov_b32_e32 v16, s29
	v_add_co_u32_e32 v22, vcc, s28, v10
	v_add3_u32 v13, v13, v18, v17
	v_lshlrev_b32_e32 v10, 2, v1
	v_addc_co_u32_e32 v23, vcc, v16, v11, vcc
	v_add_lshl_u32 v24, v10, v0, 4
	s_cmpk_lg_i32 s16, 0x6f
	v_lshlrev_b64 v[10:11], 4, v[12:13]
	s_cselect_b64 s[16:17], -1, 0
	s_ashr_i32 s25, s24, 31
	v_mov_b32_e32 v12, s29
	v_add_co_u32_e32 v25, vcc, s28, v10
	s_lshl_b64 s[28:29], s[24:25], 2
	v_mov_b32_e32 v10, 0x400
	s_add_u32 s12, s12, s28
	v_mov_b32_e32 v16, 0
	v_mov_b32_e32 v18, 0
	v_addc_co_u32_e32 v26, vcc, v12, v11, vcc
	v_add_u32_e32 v27, 0x400, v24
	v_lshl_or_b32 v28, v0, 4, v10
	v_lshlrev_b32_e32 v1, 6, v1
	s_addc_u32 s13, s13, s29
	v_lshl_add_u32 v20, s24, 2, v0
	v_mov_b32_e32 v17, 0
	v_mov_b32_e32 v19, 0
	v_mov_b32_e32 v10, 0
	s_branch .LBB45_8
.LBB45_7:                               ;   in Loop: Header=BB45_8 Depth=1
	s_or_b64 exec, exec, s[28:29]
	s_waitcnt lgkmcnt(0)
	; wave barrier
	ds_read_b128 v[29:32], v28
	ds_read_b128 v[33:36], v1
	s_add_i32 s24, s24, 1
	s_add_u32 s12, s12, 4
	s_addc_u32 s13, s13, 0
	s_cmp_ge_i32 s24, s21
	s_waitcnt lgkmcnt(0)
	v_fma_f64 v[11:12], v[29:30], v[33:34], v[18:19]
	v_fma_f64 v[16:17], v[31:32], v[33:34], v[16:17]
	v_add_u32_e32 v20, 4, v20
	; wave barrier
	v_fma_f64 v[18:19], -v[31:32], v[35:36], v[11:12]
	v_fma_f64 v[16:17], v[29:30], v[35:36], v[16:17]
	s_cbranch_scc1 .LBB45_17
.LBB45_8:                               ; =>This Inner Loop Header: Depth=1
	s_and_saveexec_b64 s[28:29], s[18:19]
	s_xor_b64 s[28:29], exec, s[28:29]
; %bb.9:                                ;   in Loop: Header=BB45_8 Depth=1
	v_mov_b32_e32 v11, v10
	v_mov_b32_e32 v12, v10
	;; [unrolled: 1-line block ×3, first 2 shown]
	ds_write_b128 v24, v[10:13]
; %bb.10:                               ;   in Loop: Header=BB45_8 Depth=1
	s_andn2_saveexec_b64 s[28:29], s[28:29]
	s_cbranch_execz .LBB45_15
; %bb.11:                               ;   in Loop: Header=BB45_8 Depth=1
	s_load_dword s7, s[12:13], 0x0
	s_mov_b64 s[34:35], -1
	s_and_b64 vcc, exec, s[16:17]
	s_waitcnt lgkmcnt(0)
	s_sub_i32 s30, s7, s20
	s_ashr_i32 s31, s30, 31
	s_cbranch_vccz .LBB45_13
; %bb.12:                               ;   in Loop: Header=BB45_8 Depth=1
	s_mul_i32 s7, s8, s31
	s_mul_hi_u32 s25, s8, s30
	s_add_i32 s7, s25, s7
	s_mul_i32 s25, s9, s30
	s_add_i32 s35, s7, s25
	s_mul_i32 s34, s8, s30
	s_lshl_b64 s[34:35], s[34:35], 4
	v_mov_b32_e32 v12, s35
	v_add_co_u32_e32 v11, vcc, s34, v22
	v_addc_co_u32_e32 v12, vcc, v23, v12, vcc
	global_load_dwordx4 v[29:32], v[11:12], off
	s_mov_b64 s[34:35], 0
	s_waitcnt vmcnt(0)
	ds_write2_b64 v24, v[29:30], v[31:32] offset1:1
.LBB45_13:                              ;   in Loop: Header=BB45_8 Depth=1
	s_andn2_b64 vcc, exec, s[34:35]
	s_cbranch_vccnz .LBB45_15
; %bb.14:                               ;   in Loop: Header=BB45_8 Depth=1
	s_lshl_b64 s[30:31], s[30:31], 4
	v_mov_b32_e32 v12, s31
	v_add_co_u32_e32 v11, vcc, s30, v25
	v_addc_co_u32_e32 v12, vcc, v26, v12, vcc
	global_load_dwordx4 v[29:32], v[11:12], off
	s_waitcnt vmcnt(0)
	ds_write2_b64 v24, v[29:30], v[31:32] offset1:1
.LBB45_15:                              ;   in Loop: Header=BB45_8 Depth=1
	s_or_b64 exec, exec, s[28:29]
	s_and_saveexec_b64 s[28:29], s[26:27]
	s_cbranch_execz .LBB45_7
; %bb.16:                               ;   in Loop: Header=BB45_8 Depth=1
	v_ashrrev_i32_e32 v21, 31, v20
	v_lshlrev_b64 v[11:12], 4, v[20:21]
	v_mov_b32_e32 v13, s15
	v_add_co_u32_e32 v11, vcc, s14, v11
	v_addc_co_u32_e32 v12, vcc, v13, v12, vcc
	global_load_dwordx4 v[29:32], v[11:12], off
	s_waitcnt vmcnt(0)
	ds_write2_b64 v27, v[29:30], v[31:32] offset1:1
	s_branch .LBB45_7
.LBB45_17:
	s_and_b64 s[0:1], s[22:23], s[0:1]
	s_and_b64 s[0:1], s[0:1], s[2:3]
	s_and_b64 exec, exec, s[0:1]
	s_cbranch_execz .LBB45_22
; %bb.18:
	v_mul_f64 v[10:11], v[16:17], -v[8:9]
	v_mul_f64 v[12:13], v[6:7], v[16:17]
	s_load_dwordx2 s[2:3], s[4:5], 0x68
	v_cmp_neq_f64_e32 vcc, 0, v[2:3]
	v_cmp_neq_f64_e64 s[0:1], 0, v[4:5]
	v_lshl_add_u32 v0, s6, 2, v0
	s_waitcnt lgkmcnt(0)
	v_mul_lo_u32 v1, s3, v14
	v_fma_f64 v[6:7], v[6:7], v[18:19], v[10:11]
	v_fma_f64 v[8:9], v[8:9], v[18:19], v[12:13]
	v_mul_lo_u32 v16, s2, v15
	v_mad_u64_u32 v[14:15], s[2:3], s2, v14, 0
	s_or_b64 s[0:1], vcc, s[0:1]
	v_add3_u32 v15, v15, v16, v1
	v_lshlrev_b64 v[10:11], 4, v[14:15]
	v_ashrrev_i32_e32 v1, 31, v0
	s_and_saveexec_b64 s[2:3], s[0:1]
	s_xor_b64 s[0:1], exec, s[2:3]
	s_cbranch_execz .LBB45_20
; %bb.19:
	v_mov_b32_e32 v12, s11
	v_add_co_u32_e32 v10, vcc, s10, v10
	v_lshlrev_b64 v[0:1], 4, v[0:1]
	v_addc_co_u32_e32 v11, vcc, v12, v11, vcc
	v_add_co_u32_e32 v14, vcc, v10, v0
	v_addc_co_u32_e32 v15, vcc, v11, v1, vcc
	global_load_dwordx4 v[10:13], v[14:15], off
	s_waitcnt vmcnt(0)
	v_fma_f64 v[0:1], v[2:3], v[10:11], v[6:7]
	v_fma_f64 v[6:7], v[4:5], v[10:11], v[8:9]
                                        ; implicit-def: $vgpr10_vgpr11
	v_fma_f64 v[0:1], -v[4:5], v[12:13], v[0:1]
	v_fma_f64 v[2:3], v[2:3], v[12:13], v[6:7]
                                        ; implicit-def: $vgpr6_vgpr7
	global_store_dwordx4 v[14:15], v[0:3], off
                                        ; implicit-def: $vgpr0
.LBB45_20:
	s_andn2_saveexec_b64 s[0:1], s[0:1]
	s_cbranch_execz .LBB45_22
; %bb.21:
	v_mov_b32_e32 v2, s11
	v_add_co_u32_e32 v3, vcc, s10, v10
	v_lshlrev_b64 v[0:1], 4, v[0:1]
	v_addc_co_u32_e32 v2, vcc, v2, v11, vcc
	v_add_co_u32_e32 v0, vcc, v3, v0
	v_addc_co_u32_e32 v1, vcc, v2, v1, vcc
	global_store_dwordx4 v[0:1], v[6:9], off
.LBB45_22:
	s_endpgm
	.section	.rodata,"a",@progbits
	.p2align	6, 0x0
	.amdhsa_kernel _ZN9rocsparseL29gebsrmm_small_blockdim_kernelILi4ELi1ELi4ELi16E21rocsparse_complex_numIdEEEv20rocsparse_direction_20rocsparse_operation_iiNS_24const_host_device_scalarIT3_EEPKiS9_PKS6_iiSB_lS7_PS6_l21rocsparse_index_base_b
		.amdhsa_group_segment_fixed_size 1280
		.amdhsa_private_segment_fixed_size 0
		.amdhsa_kernarg_size 120
		.amdhsa_user_sgpr_count 6
		.amdhsa_user_sgpr_private_segment_buffer 1
		.amdhsa_user_sgpr_dispatch_ptr 0
		.amdhsa_user_sgpr_queue_ptr 0
		.amdhsa_user_sgpr_kernarg_segment_ptr 1
		.amdhsa_user_sgpr_dispatch_id 0
		.amdhsa_user_sgpr_flat_scratch_init 0
		.amdhsa_user_sgpr_private_segment_size 0
		.amdhsa_uses_dynamic_stack 0
		.amdhsa_system_sgpr_private_segment_wavefront_offset 0
		.amdhsa_system_sgpr_workgroup_id_x 1
		.amdhsa_system_sgpr_workgroup_id_y 1
		.amdhsa_system_sgpr_workgroup_id_z 0
		.amdhsa_system_sgpr_workgroup_info 0
		.amdhsa_system_vgpr_workitem_id 1
		.amdhsa_next_free_vgpr 37
		.amdhsa_next_free_sgpr 36
		.amdhsa_reserve_vcc 1
		.amdhsa_reserve_flat_scratch 0
		.amdhsa_float_round_mode_32 0
		.amdhsa_float_round_mode_16_64 0
		.amdhsa_float_denorm_mode_32 3
		.amdhsa_float_denorm_mode_16_64 3
		.amdhsa_dx10_clamp 1
		.amdhsa_ieee_mode 1
		.amdhsa_fp16_overflow 0
		.amdhsa_exception_fp_ieee_invalid_op 0
		.amdhsa_exception_fp_denorm_src 0
		.amdhsa_exception_fp_ieee_div_zero 0
		.amdhsa_exception_fp_ieee_overflow 0
		.amdhsa_exception_fp_ieee_underflow 0
		.amdhsa_exception_fp_ieee_inexact 0
		.amdhsa_exception_int_div_zero 0
	.end_amdhsa_kernel
	.section	.text._ZN9rocsparseL29gebsrmm_small_blockdim_kernelILi4ELi1ELi4ELi16E21rocsparse_complex_numIdEEEv20rocsparse_direction_20rocsparse_operation_iiNS_24const_host_device_scalarIT3_EEPKiS9_PKS6_iiSB_lS7_PS6_l21rocsparse_index_base_b,"axG",@progbits,_ZN9rocsparseL29gebsrmm_small_blockdim_kernelILi4ELi1ELi4ELi16E21rocsparse_complex_numIdEEEv20rocsparse_direction_20rocsparse_operation_iiNS_24const_host_device_scalarIT3_EEPKiS9_PKS6_iiSB_lS7_PS6_l21rocsparse_index_base_b,comdat
.Lfunc_end45:
	.size	_ZN9rocsparseL29gebsrmm_small_blockdim_kernelILi4ELi1ELi4ELi16E21rocsparse_complex_numIdEEEv20rocsparse_direction_20rocsparse_operation_iiNS_24const_host_device_scalarIT3_EEPKiS9_PKS6_iiSB_lS7_PS6_l21rocsparse_index_base_b, .Lfunc_end45-_ZN9rocsparseL29gebsrmm_small_blockdim_kernelILi4ELi1ELi4ELi16E21rocsparse_complex_numIdEEEv20rocsparse_direction_20rocsparse_operation_iiNS_24const_host_device_scalarIT3_EEPKiS9_PKS6_iiSB_lS7_PS6_l21rocsparse_index_base_b
                                        ; -- End function
	.set _ZN9rocsparseL29gebsrmm_small_blockdim_kernelILi4ELi1ELi4ELi16E21rocsparse_complex_numIdEEEv20rocsparse_direction_20rocsparse_operation_iiNS_24const_host_device_scalarIT3_EEPKiS9_PKS6_iiSB_lS7_PS6_l21rocsparse_index_base_b.num_vgpr, 37
	.set _ZN9rocsparseL29gebsrmm_small_blockdim_kernelILi4ELi1ELi4ELi16E21rocsparse_complex_numIdEEEv20rocsparse_direction_20rocsparse_operation_iiNS_24const_host_device_scalarIT3_EEPKiS9_PKS6_iiSB_lS7_PS6_l21rocsparse_index_base_b.num_agpr, 0
	.set _ZN9rocsparseL29gebsrmm_small_blockdim_kernelILi4ELi1ELi4ELi16E21rocsparse_complex_numIdEEEv20rocsparse_direction_20rocsparse_operation_iiNS_24const_host_device_scalarIT3_EEPKiS9_PKS6_iiSB_lS7_PS6_l21rocsparse_index_base_b.numbered_sgpr, 36
	.set _ZN9rocsparseL29gebsrmm_small_blockdim_kernelILi4ELi1ELi4ELi16E21rocsparse_complex_numIdEEEv20rocsparse_direction_20rocsparse_operation_iiNS_24const_host_device_scalarIT3_EEPKiS9_PKS6_iiSB_lS7_PS6_l21rocsparse_index_base_b.num_named_barrier, 0
	.set _ZN9rocsparseL29gebsrmm_small_blockdim_kernelILi4ELi1ELi4ELi16E21rocsparse_complex_numIdEEEv20rocsparse_direction_20rocsparse_operation_iiNS_24const_host_device_scalarIT3_EEPKiS9_PKS6_iiSB_lS7_PS6_l21rocsparse_index_base_b.private_seg_size, 0
	.set _ZN9rocsparseL29gebsrmm_small_blockdim_kernelILi4ELi1ELi4ELi16E21rocsparse_complex_numIdEEEv20rocsparse_direction_20rocsparse_operation_iiNS_24const_host_device_scalarIT3_EEPKiS9_PKS6_iiSB_lS7_PS6_l21rocsparse_index_base_b.uses_vcc, 1
	.set _ZN9rocsparseL29gebsrmm_small_blockdim_kernelILi4ELi1ELi4ELi16E21rocsparse_complex_numIdEEEv20rocsparse_direction_20rocsparse_operation_iiNS_24const_host_device_scalarIT3_EEPKiS9_PKS6_iiSB_lS7_PS6_l21rocsparse_index_base_b.uses_flat_scratch, 0
	.set _ZN9rocsparseL29gebsrmm_small_blockdim_kernelILi4ELi1ELi4ELi16E21rocsparse_complex_numIdEEEv20rocsparse_direction_20rocsparse_operation_iiNS_24const_host_device_scalarIT3_EEPKiS9_PKS6_iiSB_lS7_PS6_l21rocsparse_index_base_b.has_dyn_sized_stack, 0
	.set _ZN9rocsparseL29gebsrmm_small_blockdim_kernelILi4ELi1ELi4ELi16E21rocsparse_complex_numIdEEEv20rocsparse_direction_20rocsparse_operation_iiNS_24const_host_device_scalarIT3_EEPKiS9_PKS6_iiSB_lS7_PS6_l21rocsparse_index_base_b.has_recursion, 0
	.set _ZN9rocsparseL29gebsrmm_small_blockdim_kernelILi4ELi1ELi4ELi16E21rocsparse_complex_numIdEEEv20rocsparse_direction_20rocsparse_operation_iiNS_24const_host_device_scalarIT3_EEPKiS9_PKS6_iiSB_lS7_PS6_l21rocsparse_index_base_b.has_indirect_call, 0
	.section	.AMDGPU.csdata,"",@progbits
; Kernel info:
; codeLenInByte = 1112
; TotalNumSgprs: 40
; NumVgprs: 37
; ScratchSize: 0
; MemoryBound: 0
; FloatMode: 240
; IeeeMode: 1
; LDSByteSize: 1280 bytes/workgroup (compile time only)
; SGPRBlocks: 4
; VGPRBlocks: 9
; NumSGPRsForWavesPerEU: 40
; NumVGPRsForWavesPerEU: 37
; Occupancy: 6
; WaveLimiterHint : 0
; COMPUTE_PGM_RSRC2:SCRATCH_EN: 0
; COMPUTE_PGM_RSRC2:USER_SGPR: 6
; COMPUTE_PGM_RSRC2:TRAP_HANDLER: 0
; COMPUTE_PGM_RSRC2:TGID_X_EN: 1
; COMPUTE_PGM_RSRC2:TGID_Y_EN: 1
; COMPUTE_PGM_RSRC2:TGID_Z_EN: 0
; COMPUTE_PGM_RSRC2:TIDIG_COMP_CNT: 1
	.section	.text._ZN9rocsparseL29gebsrmm_small_blockdim_kernelILi4ELi2ELi4ELi16E21rocsparse_complex_numIdEEEv20rocsparse_direction_20rocsparse_operation_iiNS_24const_host_device_scalarIT3_EEPKiS9_PKS6_iiSB_lS7_PS6_l21rocsparse_index_base_b,"axG",@progbits,_ZN9rocsparseL29gebsrmm_small_blockdim_kernelILi4ELi2ELi4ELi16E21rocsparse_complex_numIdEEEv20rocsparse_direction_20rocsparse_operation_iiNS_24const_host_device_scalarIT3_EEPKiS9_PKS6_iiSB_lS7_PS6_l21rocsparse_index_base_b,comdat
	.globl	_ZN9rocsparseL29gebsrmm_small_blockdim_kernelILi4ELi2ELi4ELi16E21rocsparse_complex_numIdEEEv20rocsparse_direction_20rocsparse_operation_iiNS_24const_host_device_scalarIT3_EEPKiS9_PKS6_iiSB_lS7_PS6_l21rocsparse_index_base_b ; -- Begin function _ZN9rocsparseL29gebsrmm_small_blockdim_kernelILi4ELi2ELi4ELi16E21rocsparse_complex_numIdEEEv20rocsparse_direction_20rocsparse_operation_iiNS_24const_host_device_scalarIT3_EEPKiS9_PKS6_iiSB_lS7_PS6_l21rocsparse_index_base_b
	.p2align	8
	.type	_ZN9rocsparseL29gebsrmm_small_blockdim_kernelILi4ELi2ELi4ELi16E21rocsparse_complex_numIdEEEv20rocsparse_direction_20rocsparse_operation_iiNS_24const_host_device_scalarIT3_EEPKiS9_PKS6_iiSB_lS7_PS6_l21rocsparse_index_base_b,@function
_ZN9rocsparseL29gebsrmm_small_blockdim_kernelILi4ELi2ELi4ELi16E21rocsparse_complex_numIdEEEv20rocsparse_direction_20rocsparse_operation_iiNS_24const_host_device_scalarIT3_EEPKiS9_PKS6_iiSB_lS7_PS6_l21rocsparse_index_base_b: ; @_ZN9rocsparseL29gebsrmm_small_blockdim_kernelILi4ELi2ELi4ELi16E21rocsparse_complex_numIdEEEv20rocsparse_direction_20rocsparse_operation_iiNS_24const_host_device_scalarIT3_EEPKiS9_PKS6_iiSB_lS7_PS6_l21rocsparse_index_base_b
; %bb.0:
	s_load_dwordx2 s[0:1], s[4:5], 0x10
	s_load_dwordx4 s[8:11], s[4:5], 0x48
	s_load_dwordx2 s[20:21], s[4:5], 0x70
	s_add_u32 s2, s4, 16
	s_addc_u32 s3, s5, 0
	s_add_u32 s12, s4, 0x50
	s_addc_u32 s13, s5, 0
	s_waitcnt lgkmcnt(0)
	s_bitcmp1_b32 s21, 0
	s_cselect_b32 s1, s3, s1
	s_cselect_b32 s0, s2, s0
	v_mov_b32_e32 v2, s0
	v_mov_b32_e32 v3, s1
	flat_load_dwordx4 v[6:9], v[2:3]
	s_cselect_b32 s0, s13, s11
	s_cselect_b32 s1, s12, s10
	v_mov_b32_e32 v2, s1
	v_mov_b32_e32 v3, s0
	flat_load_dwordx4 v[2:5], v[2:3]
	s_waitcnt vmcnt(0) lgkmcnt(0)
	v_cmp_eq_f64_e32 vcc, 0, v[6:7]
	v_cmp_eq_f64_e64 s[0:1], 0, v[8:9]
	s_and_b64 s[10:11], vcc, s[0:1]
	s_mov_b64 s[0:1], -1
	s_and_saveexec_b64 s[2:3], s[10:11]
	s_cbranch_execz .LBB46_2
; %bb.1:
	v_cmp_neq_f64_e32 vcc, 1.0, v[2:3]
	v_cmp_neq_f64_e64 s[0:1], 0, v[4:5]
	s_or_b64 s[0:1], vcc, s[0:1]
	s_orn2_b64 s[0:1], s[0:1], exec
.LBB46_2:
	s_or_b64 exec, exec, s[2:3]
	s_and_saveexec_b64 s[2:3], s[0:1]
	s_cbranch_execz .LBB46_22
; %bb.3:
	s_load_dwordx4 s[16:19], s[4:5], 0x0
	s_mov_b32 s21, 0
	s_waitcnt lgkmcnt(0)
	s_cmp_lt_i32 s6, s18
	s_cselect_b64 s[22:23], -1, 0
	s_cmp_ge_i32 s6, s18
	s_mov_b32 s18, 0
	s_cbranch_scc1 .LBB46_5
; %bb.4:
	s_load_dwordx2 s[2:3], s[4:5], 0x20
	s_mov_b32 s0, s7
	s_ashr_i32 s7, s6, 31
	s_lshl_b64 s[10:11], s[6:7], 2
	s_mov_b32 s7, s0
	s_waitcnt lgkmcnt(0)
	s_add_u32 s0, s2, s10
	s_addc_u32 s1, s3, s11
	s_load_dwordx2 s[2:3], s[0:1], 0x0
	s_waitcnt lgkmcnt(0)
	s_sub_i32 s18, s2, s20
	s_sub_i32 s21, s3, s20
.LBB46_5:
	s_load_dwordx2 s[10:11], s[4:5], 0x60
	v_lshl_add_u32 v14, s7, 4, v1
	v_mov_b32_e32 v16, 0
	v_mov_b32_e32 v18, 0
	v_ashrrev_i32_e32 v15, 31, v14
	v_cmp_gt_i32_e64 s[0:1], s19, v14
	v_mov_b32_e32 v17, 0
	s_cmp_ge_i32 s18, s21
	v_mov_b32_e32 v19, 0
	v_cmp_gt_u32_e64 s[2:3], 4, v0
	s_cbranch_scc1 .LBB46_17
; %bb.6:
	s_load_dwordx4 s[12:15], s[4:5], 0x28
	s_load_dwordx2 s[30:31], s[4:5], 0x40
	v_mul_lo_u32 v17, s9, v14
	v_mul_lo_u32 v18, s8, v15
	v_mad_u64_u32 v[12:13], s[28:29], s8, v14, 0
	v_cmp_lt_u32_e32 vcc, 1, v0
	s_xor_b64 s[24:25], s[0:1], -1
	v_lshlrev_b64 v[10:11], 4, v[14:15]
	s_or_b64 s[24:25], s[24:25], vcc
	v_cmp_gt_u32_e32 vcc, 2, v1
	s_and_b64 s[26:27], s[2:3], vcc
	s_waitcnt lgkmcnt(0)
	v_mov_b32_e32 v16, s31
	v_add_co_u32_e32 v22, vcc, s30, v10
	v_add3_u32 v13, v13, v18, v17
	v_addc_co_u32_e32 v23, vcc, v16, v11, vcc
	v_lshlrev_b64 v[10:11], 4, v[12:13]
	v_mov_b32_e32 v12, s31
	v_add_co_u32_e32 v10, vcc, s30, v10
	v_addc_co_u32_e32 v11, vcc, v12, v11, vcc
	v_lshlrev_b32_e32 v12, 4, v0
	s_cmpk_lg_i32 s17, 0x6f
	v_add_co_u32_e32 v25, vcc, v10, v12
	s_cselect_b64 s[28:29], -1, 0
	v_addc_co_u32_e32 v26, vcc, 0, v11, vcc
	s_cmp_eq_u32 s16, 0
	s_cselect_b64 vcc, -1, 0
	s_ashr_i32 s19, s18, 31
	v_lshl_add_u32 v16, v1, 2, v0
	v_lshl_add_u32 v10, v0, 1, v1
	s_lshl_b64 s[16:17], s[18:19], 2
	v_lshlrev_b32_e32 v24, 4, v16
	v_cndmask_b32_e32 v10, v16, v10, vcc
	s_add_u32 s12, s12, s16
	v_mov_b32_e32 v16, 0
	v_mov_b32_e32 v18, 0
	v_add_u32_e32 v27, 0x400, v24
	v_add_u32_e32 v28, 0x400, v12
	v_lshlrev_b32_e32 v1, 6, v1
	s_addc_u32 s13, s13, s17
	v_lshl_add_u32 v20, s18, 3, v10
	v_mov_b32_e32 v17, 0
	v_mov_b32_e32 v19, 0
	v_mov_b32_e32 v10, 0
	s_branch .LBB46_8
.LBB46_7:                               ;   in Loop: Header=BB46_8 Depth=1
	s_or_b64 exec, exec, s[16:17]
	s_waitcnt lgkmcnt(0)
	; wave barrier
	ds_read_b128 v[29:32], v28
	ds_read_b128 v[33:36], v1
	s_add_i32 s18, s18, 1
	s_add_u32 s12, s12, 4
	s_addc_u32 s13, s13, 0
	s_cmp_ge_i32 s18, s21
	s_waitcnt lgkmcnt(0)
	v_fma_f64 v[11:12], v[29:30], v[33:34], v[18:19]
	v_fma_f64 v[16:17], v[31:32], v[33:34], v[16:17]
	v_add_u32_e32 v20, 8, v20
	v_fma_f64 v[11:12], -v[31:32], v[35:36], v[11:12]
	v_fma_f64 v[33:34], v[29:30], v[35:36], v[16:17]
	ds_read_b128 v[29:32], v1 offset:16
	ds_read_b128 v[16:19], v28 offset:64
	s_waitcnt lgkmcnt(0)
	; wave barrier
	v_fma_f64 v[11:12], v[16:17], v[29:30], v[11:12]
	v_fma_f64 v[29:30], v[18:19], v[29:30], v[33:34]
	v_fma_f64 v[18:19], -v[18:19], v[31:32], v[11:12]
	v_fma_f64 v[16:17], v[16:17], v[31:32], v[29:30]
	s_cbranch_scc1 .LBB46_17
.LBB46_8:                               ; =>This Inner Loop Header: Depth=1
	s_and_saveexec_b64 s[16:17], s[24:25]
	s_xor_b64 s[16:17], exec, s[16:17]
; %bb.9:                                ;   in Loop: Header=BB46_8 Depth=1
	v_mov_b32_e32 v11, v10
	v_mov_b32_e32 v12, v10
	v_mov_b32_e32 v13, v10
	ds_write_b128 v24, v[10:13]
; %bb.10:                               ;   in Loop: Header=BB46_8 Depth=1
	s_andn2_saveexec_b64 s[16:17], s[16:17]
	s_cbranch_execz .LBB46_15
; %bb.11:                               ;   in Loop: Header=BB46_8 Depth=1
	s_load_dword s7, s[12:13], 0x0
	s_mov_b64 s[34:35], -1
	s_and_b64 vcc, exec, s[28:29]
	s_waitcnt lgkmcnt(0)
	s_sub_i32 s7, s7, s20
	s_lshl_b32 s30, s7, 1
	s_cbranch_vccz .LBB46_13
; %bb.12:                               ;   in Loop: Header=BB46_8 Depth=1
	v_or_b32_e32 v11, s30, v0
	v_mul_lo_u32 v13, s9, v11
	v_mad_u64_u32 v[11:12], s[34:35], s8, v11, 0
	s_ashr_i32 s7, s30, 31
	s_mul_i32 s7, s8, s7
	v_add3_u32 v12, v12, s7, v13
	v_lshlrev_b64 v[11:12], 4, v[11:12]
	s_mov_b64 s[34:35], 0
	v_add_co_u32_e32 v11, vcc, v22, v11
	v_addc_co_u32_e32 v12, vcc, v23, v12, vcc
	global_load_dwordx4 v[29:32], v[11:12], off
	s_waitcnt vmcnt(0)
	ds_write2_b64 v24, v[29:30], v[31:32] offset1:1
.LBB46_13:                              ;   in Loop: Header=BB46_8 Depth=1
	s_andn2_b64 vcc, exec, s[34:35]
	s_cbranch_vccnz .LBB46_15
; %bb.14:                               ;   in Loop: Header=BB46_8 Depth=1
	s_ashr_i32 s31, s30, 31
	s_lshl_b64 s[30:31], s[30:31], 4
	v_mov_b32_e32 v12, s31
	v_add_co_u32_e32 v11, vcc, s30, v25
	v_addc_co_u32_e32 v12, vcc, v26, v12, vcc
	global_load_dwordx4 v[29:32], v[11:12], off
	s_waitcnt vmcnt(0)
	ds_write2_b64 v24, v[29:30], v[31:32] offset1:1
.LBB46_15:                              ;   in Loop: Header=BB46_8 Depth=1
	s_or_b64 exec, exec, s[16:17]
	s_and_saveexec_b64 s[16:17], s[26:27]
	s_cbranch_execz .LBB46_7
; %bb.16:                               ;   in Loop: Header=BB46_8 Depth=1
	v_ashrrev_i32_e32 v21, 31, v20
	v_lshlrev_b64 v[11:12], 4, v[20:21]
	v_mov_b32_e32 v13, s15
	v_add_co_u32_e32 v11, vcc, s14, v11
	v_addc_co_u32_e32 v12, vcc, v13, v12, vcc
	global_load_dwordx4 v[29:32], v[11:12], off
	s_waitcnt vmcnt(0)
	ds_write2_b64 v27, v[29:30], v[31:32] offset1:1
	s_branch .LBB46_7
.LBB46_17:
	s_and_b64 s[0:1], s[22:23], s[0:1]
	s_and_b64 s[0:1], s[0:1], s[2:3]
	s_and_b64 exec, exec, s[0:1]
	s_cbranch_execz .LBB46_22
; %bb.18:
	v_mul_f64 v[10:11], v[16:17], -v[8:9]
	v_mul_f64 v[12:13], v[6:7], v[16:17]
	s_load_dwordx2 s[2:3], s[4:5], 0x68
	v_cmp_neq_f64_e32 vcc, 0, v[2:3]
	v_cmp_neq_f64_e64 s[0:1], 0, v[4:5]
	v_lshl_add_u32 v0, s6, 2, v0
	s_waitcnt lgkmcnt(0)
	v_mul_lo_u32 v1, s3, v14
	v_fma_f64 v[6:7], v[6:7], v[18:19], v[10:11]
	v_fma_f64 v[8:9], v[8:9], v[18:19], v[12:13]
	v_mul_lo_u32 v16, s2, v15
	v_mad_u64_u32 v[14:15], s[2:3], s2, v14, 0
	s_or_b64 s[0:1], vcc, s[0:1]
	v_add3_u32 v15, v15, v16, v1
	v_lshlrev_b64 v[10:11], 4, v[14:15]
	v_ashrrev_i32_e32 v1, 31, v0
	s_and_saveexec_b64 s[2:3], s[0:1]
	s_xor_b64 s[0:1], exec, s[2:3]
	s_cbranch_execz .LBB46_20
; %bb.19:
	v_mov_b32_e32 v12, s11
	v_add_co_u32_e32 v10, vcc, s10, v10
	v_lshlrev_b64 v[0:1], 4, v[0:1]
	v_addc_co_u32_e32 v11, vcc, v12, v11, vcc
	v_add_co_u32_e32 v14, vcc, v10, v0
	v_addc_co_u32_e32 v15, vcc, v11, v1, vcc
	global_load_dwordx4 v[10:13], v[14:15], off
	s_waitcnt vmcnt(0)
	v_fma_f64 v[0:1], v[2:3], v[10:11], v[6:7]
	v_fma_f64 v[6:7], v[4:5], v[10:11], v[8:9]
                                        ; implicit-def: $vgpr10_vgpr11
	v_fma_f64 v[0:1], -v[4:5], v[12:13], v[0:1]
	v_fma_f64 v[2:3], v[2:3], v[12:13], v[6:7]
                                        ; implicit-def: $vgpr6_vgpr7
	global_store_dwordx4 v[14:15], v[0:3], off
                                        ; implicit-def: $vgpr0
.LBB46_20:
	s_andn2_saveexec_b64 s[0:1], s[0:1]
	s_cbranch_execz .LBB46_22
; %bb.21:
	v_mov_b32_e32 v2, s11
	v_add_co_u32_e32 v3, vcc, s10, v10
	v_lshlrev_b64 v[0:1], 4, v[0:1]
	v_addc_co_u32_e32 v2, vcc, v2, v11, vcc
	v_add_co_u32_e32 v0, vcc, v3, v0
	v_addc_co_u32_e32 v1, vcc, v2, v1, vcc
	global_store_dwordx4 v[0:1], v[6:9], off
.LBB46_22:
	s_endpgm
	.section	.rodata,"a",@progbits
	.p2align	6, 0x0
	.amdhsa_kernel _ZN9rocsparseL29gebsrmm_small_blockdim_kernelILi4ELi2ELi4ELi16E21rocsparse_complex_numIdEEEv20rocsparse_direction_20rocsparse_operation_iiNS_24const_host_device_scalarIT3_EEPKiS9_PKS6_iiSB_lS7_PS6_l21rocsparse_index_base_b
		.amdhsa_group_segment_fixed_size 1280
		.amdhsa_private_segment_fixed_size 0
		.amdhsa_kernarg_size 120
		.amdhsa_user_sgpr_count 6
		.amdhsa_user_sgpr_private_segment_buffer 1
		.amdhsa_user_sgpr_dispatch_ptr 0
		.amdhsa_user_sgpr_queue_ptr 0
		.amdhsa_user_sgpr_kernarg_segment_ptr 1
		.amdhsa_user_sgpr_dispatch_id 0
		.amdhsa_user_sgpr_flat_scratch_init 0
		.amdhsa_user_sgpr_private_segment_size 0
		.amdhsa_uses_dynamic_stack 0
		.amdhsa_system_sgpr_private_segment_wavefront_offset 0
		.amdhsa_system_sgpr_workgroup_id_x 1
		.amdhsa_system_sgpr_workgroup_id_y 1
		.amdhsa_system_sgpr_workgroup_id_z 0
		.amdhsa_system_sgpr_workgroup_info 0
		.amdhsa_system_vgpr_workitem_id 1
		.amdhsa_next_free_vgpr 37
		.amdhsa_next_free_sgpr 36
		.amdhsa_reserve_vcc 1
		.amdhsa_reserve_flat_scratch 0
		.amdhsa_float_round_mode_32 0
		.amdhsa_float_round_mode_16_64 0
		.amdhsa_float_denorm_mode_32 3
		.amdhsa_float_denorm_mode_16_64 3
		.amdhsa_dx10_clamp 1
		.amdhsa_ieee_mode 1
		.amdhsa_fp16_overflow 0
		.amdhsa_exception_fp_ieee_invalid_op 0
		.amdhsa_exception_fp_denorm_src 0
		.amdhsa_exception_fp_ieee_div_zero 0
		.amdhsa_exception_fp_ieee_overflow 0
		.amdhsa_exception_fp_ieee_underflow 0
		.amdhsa_exception_fp_ieee_inexact 0
		.amdhsa_exception_int_div_zero 0
	.end_amdhsa_kernel
	.section	.text._ZN9rocsparseL29gebsrmm_small_blockdim_kernelILi4ELi2ELi4ELi16E21rocsparse_complex_numIdEEEv20rocsparse_direction_20rocsparse_operation_iiNS_24const_host_device_scalarIT3_EEPKiS9_PKS6_iiSB_lS7_PS6_l21rocsparse_index_base_b,"axG",@progbits,_ZN9rocsparseL29gebsrmm_small_blockdim_kernelILi4ELi2ELi4ELi16E21rocsparse_complex_numIdEEEv20rocsparse_direction_20rocsparse_operation_iiNS_24const_host_device_scalarIT3_EEPKiS9_PKS6_iiSB_lS7_PS6_l21rocsparse_index_base_b,comdat
.Lfunc_end46:
	.size	_ZN9rocsparseL29gebsrmm_small_blockdim_kernelILi4ELi2ELi4ELi16E21rocsparse_complex_numIdEEEv20rocsparse_direction_20rocsparse_operation_iiNS_24const_host_device_scalarIT3_EEPKiS9_PKS6_iiSB_lS7_PS6_l21rocsparse_index_base_b, .Lfunc_end46-_ZN9rocsparseL29gebsrmm_small_blockdim_kernelILi4ELi2ELi4ELi16E21rocsparse_complex_numIdEEEv20rocsparse_direction_20rocsparse_operation_iiNS_24const_host_device_scalarIT3_EEPKiS9_PKS6_iiSB_lS7_PS6_l21rocsparse_index_base_b
                                        ; -- End function
	.set _ZN9rocsparseL29gebsrmm_small_blockdim_kernelILi4ELi2ELi4ELi16E21rocsparse_complex_numIdEEEv20rocsparse_direction_20rocsparse_operation_iiNS_24const_host_device_scalarIT3_EEPKiS9_PKS6_iiSB_lS7_PS6_l21rocsparse_index_base_b.num_vgpr, 37
	.set _ZN9rocsparseL29gebsrmm_small_blockdim_kernelILi4ELi2ELi4ELi16E21rocsparse_complex_numIdEEEv20rocsparse_direction_20rocsparse_operation_iiNS_24const_host_device_scalarIT3_EEPKiS9_PKS6_iiSB_lS7_PS6_l21rocsparse_index_base_b.num_agpr, 0
	.set _ZN9rocsparseL29gebsrmm_small_blockdim_kernelILi4ELi2ELi4ELi16E21rocsparse_complex_numIdEEEv20rocsparse_direction_20rocsparse_operation_iiNS_24const_host_device_scalarIT3_EEPKiS9_PKS6_iiSB_lS7_PS6_l21rocsparse_index_base_b.numbered_sgpr, 36
	.set _ZN9rocsparseL29gebsrmm_small_blockdim_kernelILi4ELi2ELi4ELi16E21rocsparse_complex_numIdEEEv20rocsparse_direction_20rocsparse_operation_iiNS_24const_host_device_scalarIT3_EEPKiS9_PKS6_iiSB_lS7_PS6_l21rocsparse_index_base_b.num_named_barrier, 0
	.set _ZN9rocsparseL29gebsrmm_small_blockdim_kernelILi4ELi2ELi4ELi16E21rocsparse_complex_numIdEEEv20rocsparse_direction_20rocsparse_operation_iiNS_24const_host_device_scalarIT3_EEPKiS9_PKS6_iiSB_lS7_PS6_l21rocsparse_index_base_b.private_seg_size, 0
	.set _ZN9rocsparseL29gebsrmm_small_blockdim_kernelILi4ELi2ELi4ELi16E21rocsparse_complex_numIdEEEv20rocsparse_direction_20rocsparse_operation_iiNS_24const_host_device_scalarIT3_EEPKiS9_PKS6_iiSB_lS7_PS6_l21rocsparse_index_base_b.uses_vcc, 1
	.set _ZN9rocsparseL29gebsrmm_small_blockdim_kernelILi4ELi2ELi4ELi16E21rocsparse_complex_numIdEEEv20rocsparse_direction_20rocsparse_operation_iiNS_24const_host_device_scalarIT3_EEPKiS9_PKS6_iiSB_lS7_PS6_l21rocsparse_index_base_b.uses_flat_scratch, 0
	.set _ZN9rocsparseL29gebsrmm_small_blockdim_kernelILi4ELi2ELi4ELi16E21rocsparse_complex_numIdEEEv20rocsparse_direction_20rocsparse_operation_iiNS_24const_host_device_scalarIT3_EEPKiS9_PKS6_iiSB_lS7_PS6_l21rocsparse_index_base_b.has_dyn_sized_stack, 0
	.set _ZN9rocsparseL29gebsrmm_small_blockdim_kernelILi4ELi2ELi4ELi16E21rocsparse_complex_numIdEEEv20rocsparse_direction_20rocsparse_operation_iiNS_24const_host_device_scalarIT3_EEPKiS9_PKS6_iiSB_lS7_PS6_l21rocsparse_index_base_b.has_recursion, 0
	.set _ZN9rocsparseL29gebsrmm_small_blockdim_kernelILi4ELi2ELi4ELi16E21rocsparse_complex_numIdEEEv20rocsparse_direction_20rocsparse_operation_iiNS_24const_host_device_scalarIT3_EEPKiS9_PKS6_iiSB_lS7_PS6_l21rocsparse_index_base_b.has_indirect_call, 0
	.section	.AMDGPU.csdata,"",@progbits
; Kernel info:
; codeLenInByte = 1204
; TotalNumSgprs: 40
; NumVgprs: 37
; ScratchSize: 0
; MemoryBound: 0
; FloatMode: 240
; IeeeMode: 1
; LDSByteSize: 1280 bytes/workgroup (compile time only)
; SGPRBlocks: 4
; VGPRBlocks: 9
; NumSGPRsForWavesPerEU: 40
; NumVGPRsForWavesPerEU: 37
; Occupancy: 6
; WaveLimiterHint : 0
; COMPUTE_PGM_RSRC2:SCRATCH_EN: 0
; COMPUTE_PGM_RSRC2:USER_SGPR: 6
; COMPUTE_PGM_RSRC2:TRAP_HANDLER: 0
; COMPUTE_PGM_RSRC2:TGID_X_EN: 1
; COMPUTE_PGM_RSRC2:TGID_Y_EN: 1
; COMPUTE_PGM_RSRC2:TGID_Z_EN: 0
; COMPUTE_PGM_RSRC2:TIDIG_COMP_CNT: 1
	.section	.text._ZN9rocsparseL29gebsrmm_small_blockdim_kernelILi4ELi3ELi4ELi16E21rocsparse_complex_numIdEEEv20rocsparse_direction_20rocsparse_operation_iiNS_24const_host_device_scalarIT3_EEPKiS9_PKS6_iiSB_lS7_PS6_l21rocsparse_index_base_b,"axG",@progbits,_ZN9rocsparseL29gebsrmm_small_blockdim_kernelILi4ELi3ELi4ELi16E21rocsparse_complex_numIdEEEv20rocsparse_direction_20rocsparse_operation_iiNS_24const_host_device_scalarIT3_EEPKiS9_PKS6_iiSB_lS7_PS6_l21rocsparse_index_base_b,comdat
	.globl	_ZN9rocsparseL29gebsrmm_small_blockdim_kernelILi4ELi3ELi4ELi16E21rocsparse_complex_numIdEEEv20rocsparse_direction_20rocsparse_operation_iiNS_24const_host_device_scalarIT3_EEPKiS9_PKS6_iiSB_lS7_PS6_l21rocsparse_index_base_b ; -- Begin function _ZN9rocsparseL29gebsrmm_small_blockdim_kernelILi4ELi3ELi4ELi16E21rocsparse_complex_numIdEEEv20rocsparse_direction_20rocsparse_operation_iiNS_24const_host_device_scalarIT3_EEPKiS9_PKS6_iiSB_lS7_PS6_l21rocsparse_index_base_b
	.p2align	8
	.type	_ZN9rocsparseL29gebsrmm_small_blockdim_kernelILi4ELi3ELi4ELi16E21rocsparse_complex_numIdEEEv20rocsparse_direction_20rocsparse_operation_iiNS_24const_host_device_scalarIT3_EEPKiS9_PKS6_iiSB_lS7_PS6_l21rocsparse_index_base_b,@function
_ZN9rocsparseL29gebsrmm_small_blockdim_kernelILi4ELi3ELi4ELi16E21rocsparse_complex_numIdEEEv20rocsparse_direction_20rocsparse_operation_iiNS_24const_host_device_scalarIT3_EEPKiS9_PKS6_iiSB_lS7_PS6_l21rocsparse_index_base_b: ; @_ZN9rocsparseL29gebsrmm_small_blockdim_kernelILi4ELi3ELi4ELi16E21rocsparse_complex_numIdEEEv20rocsparse_direction_20rocsparse_operation_iiNS_24const_host_device_scalarIT3_EEPKiS9_PKS6_iiSB_lS7_PS6_l21rocsparse_index_base_b
; %bb.0:
	s_load_dwordx2 s[0:1], s[4:5], 0x10
	s_load_dwordx4 s[8:11], s[4:5], 0x48
	s_load_dwordx2 s[20:21], s[4:5], 0x70
	s_add_u32 s2, s4, 16
	s_addc_u32 s3, s5, 0
	s_add_u32 s12, s4, 0x50
	s_addc_u32 s13, s5, 0
	s_waitcnt lgkmcnt(0)
	s_bitcmp1_b32 s21, 0
	s_cselect_b32 s1, s3, s1
	s_cselect_b32 s0, s2, s0
	v_mov_b32_e32 v2, s0
	v_mov_b32_e32 v3, s1
	flat_load_dwordx4 v[6:9], v[2:3]
	s_cselect_b32 s0, s13, s11
	s_cselect_b32 s1, s12, s10
	v_mov_b32_e32 v2, s1
	v_mov_b32_e32 v3, s0
	flat_load_dwordx4 v[2:5], v[2:3]
	s_waitcnt vmcnt(0) lgkmcnt(0)
	v_cmp_eq_f64_e32 vcc, 0, v[6:7]
	v_cmp_eq_f64_e64 s[0:1], 0, v[8:9]
	s_and_b64 s[10:11], vcc, s[0:1]
	s_mov_b64 s[0:1], -1
	s_and_saveexec_b64 s[2:3], s[10:11]
	s_cbranch_execz .LBB47_2
; %bb.1:
	v_cmp_neq_f64_e32 vcc, 1.0, v[2:3]
	v_cmp_neq_f64_e64 s[0:1], 0, v[4:5]
	s_or_b64 s[0:1], vcc, s[0:1]
	s_orn2_b64 s[0:1], s[0:1], exec
.LBB47_2:
	s_or_b64 exec, exec, s[2:3]
	s_and_saveexec_b64 s[2:3], s[0:1]
	s_cbranch_execz .LBB47_22
; %bb.3:
	s_load_dwordx4 s[16:19], s[4:5], 0x0
	s_mov_b32 s21, 0
	s_waitcnt lgkmcnt(0)
	s_cmp_lt_i32 s6, s18
	s_cselect_b64 s[22:23], -1, 0
	s_cmp_ge_i32 s6, s18
	s_mov_b32 s18, 0
	s_cbranch_scc1 .LBB47_5
; %bb.4:
	s_load_dwordx2 s[2:3], s[4:5], 0x20
	s_mov_b32 s0, s7
	s_ashr_i32 s7, s6, 31
	s_lshl_b64 s[10:11], s[6:7], 2
	s_mov_b32 s7, s0
	s_waitcnt lgkmcnt(0)
	s_add_u32 s0, s2, s10
	s_addc_u32 s1, s3, s11
	s_load_dwordx2 s[2:3], s[0:1], 0x0
	s_waitcnt lgkmcnt(0)
	s_sub_i32 s18, s2, s20
	s_sub_i32 s21, s3, s20
.LBB47_5:
	s_load_dwordx2 s[10:11], s[4:5], 0x60
	v_lshl_add_u32 v14, s7, 4, v1
	v_mov_b32_e32 v18, 0
	v_mov_b32_e32 v20, 0
	v_ashrrev_i32_e32 v15, 31, v14
	v_cmp_gt_i32_e64 s[0:1], s19, v14
	v_mov_b32_e32 v19, 0
	s_cmp_ge_i32 s18, s21
	v_mov_b32_e32 v21, 0
	v_cmp_gt_u32_e64 s[2:3], 4, v0
	s_cbranch_scc1 .LBB47_17
; %bb.6:
	s_load_dwordx4 s[12:15], s[4:5], 0x28
	s_load_dwordx2 s[30:31], s[4:5], 0x40
	v_mul_lo_u32 v17, s9, v14
	v_mul_lo_u32 v18, s8, v15
	v_mad_u64_u32 v[12:13], s[28:29], s8, v14, 0
	v_cmp_lt_u32_e32 vcc, 2, v0
	s_xor_b64 s[24:25], s[0:1], -1
	v_lshlrev_b64 v[10:11], 4, v[14:15]
	s_or_b64 s[24:25], s[24:25], vcc
	v_cmp_gt_u32_e32 vcc, 3, v1
	s_and_b64 s[26:27], s[2:3], vcc
	s_waitcnt lgkmcnt(0)
	v_mov_b32_e32 v16, s31
	v_add_co_u32_e32 v22, vcc, s30, v10
	v_add3_u32 v13, v13, v18, v17
	v_addc_co_u32_e32 v23, vcc, v16, v11, vcc
	v_lshlrev_b64 v[10:11], 4, v[12:13]
	v_mov_b32_e32 v12, s31
	v_add_co_u32_e32 v10, vcc, s30, v10
	v_addc_co_u32_e32 v11, vcc, v12, v11, vcc
	v_lshlrev_b32_e32 v12, 4, v0
	s_cmpk_lg_i32 s17, 0x6f
	v_add_co_u32_e32 v25, vcc, v10, v12
	s_cselect_b64 s[28:29], -1, 0
	v_addc_co_u32_e32 v26, vcc, 0, v11, vcc
	s_cmp_eq_u32 s16, 0
	s_cselect_b64 vcc, -1, 0
	s_ashr_i32 s19, s18, 31
	v_lshl_add_u32 v16, v1, 2, v0
	v_mad_u32_u24 v10, v0, 3, v1
	s_lshl_b64 s[16:17], s[18:19], 2
	v_cndmask_b32_e32 v10, v16, v10, vcc
	s_add_u32 s12, s12, s16
	v_lshlrev_b32_e32 v24, 4, v16
	s_addc_u32 s13, s13, s17
	v_mad_u64_u32 v[16:17], s[16:17], s18, 12, v[10:11]
	v_mov_b32_e32 v18, 0
	v_mov_b32_e32 v20, 0
	v_add_u32_e32 v27, 0x400, v24
	v_add_u32_e32 v28, 0x400, v12
	v_lshlrev_b32_e32 v1, 6, v1
	v_mov_b32_e32 v19, 0
	v_mov_b32_e32 v21, 0
	;; [unrolled: 1-line block ×3, first 2 shown]
	s_branch .LBB47_8
.LBB47_7:                               ;   in Loop: Header=BB47_8 Depth=1
	s_or_b64 exec, exec, s[16:17]
	s_waitcnt lgkmcnt(0)
	; wave barrier
	ds_read_b128 v[29:32], v1
	ds_read_b128 v[33:36], v28
	s_add_i32 s18, s18, 1
	s_add_u32 s12, s12, 4
	s_addc_u32 s13, s13, 0
	s_cmp_ge_i32 s18, s21
	s_waitcnt lgkmcnt(0)
	v_fma_f64 v[11:12], v[33:34], v[29:30], v[20:21]
	v_fma_f64 v[17:18], v[35:36], v[29:30], v[18:19]
	v_add_u32_e32 v16, 12, v16
	v_fma_f64 v[11:12], -v[35:36], v[31:32], v[11:12]
	v_fma_f64 v[33:34], v[33:34], v[31:32], v[17:18]
	ds_read_b128 v[17:20], v28 offset:64
	ds_read_b128 v[29:32], v1 offset:16
	s_waitcnt lgkmcnt(0)
	v_fma_f64 v[11:12], v[17:18], v[29:30], v[11:12]
	v_fma_f64 v[29:30], v[19:20], v[29:30], v[33:34]
	v_fma_f64 v[11:12], -v[19:20], v[31:32], v[11:12]
	v_fma_f64 v[33:34], v[17:18], v[31:32], v[29:30]
	ds_read_b128 v[17:20], v28 offset:128
	ds_read_b128 v[29:32], v1 offset:32
	s_waitcnt lgkmcnt(0)
	; wave barrier
	v_fma_f64 v[11:12], v[17:18], v[29:30], v[11:12]
	v_fma_f64 v[29:30], v[19:20], v[29:30], v[33:34]
	v_fma_f64 v[20:21], -v[19:20], v[31:32], v[11:12]
	v_fma_f64 v[18:19], v[17:18], v[31:32], v[29:30]
	s_cbranch_scc1 .LBB47_17
.LBB47_8:                               ; =>This Inner Loop Header: Depth=1
	s_and_saveexec_b64 s[16:17], s[24:25]
	s_xor_b64 s[16:17], exec, s[16:17]
; %bb.9:                                ;   in Loop: Header=BB47_8 Depth=1
	v_mov_b32_e32 v11, v10
	v_mov_b32_e32 v12, v10
	;; [unrolled: 1-line block ×3, first 2 shown]
	ds_write_b128 v24, v[10:13]
; %bb.10:                               ;   in Loop: Header=BB47_8 Depth=1
	s_andn2_saveexec_b64 s[16:17], s[16:17]
	s_cbranch_execz .LBB47_15
; %bb.11:                               ;   in Loop: Header=BB47_8 Depth=1
	s_load_dword s7, s[12:13], 0x0
	s_mov_b64 s[34:35], -1
	s_and_b64 vcc, exec, s[28:29]
	s_waitcnt lgkmcnt(0)
	s_sub_i32 s7, s7, s20
	s_mul_i32 s30, s7, 3
	s_cbranch_vccz .LBB47_13
; %bb.12:                               ;   in Loop: Header=BB47_8 Depth=1
	v_add_u32_e32 v11, s30, v0
	v_ashrrev_i32_e32 v13, 31, v11
	v_mul_lo_u32 v17, s9, v11
	v_mad_u64_u32 v[11:12], s[34:35], s8, v11, 0
	v_mul_lo_u32 v13, s8, v13
	s_mov_b64 s[34:35], 0
	v_add3_u32 v12, v12, v13, v17
	v_lshlrev_b64 v[11:12], 4, v[11:12]
	v_add_co_u32_e32 v11, vcc, v22, v11
	v_addc_co_u32_e32 v12, vcc, v23, v12, vcc
	global_load_dwordx4 v[29:32], v[11:12], off
	s_waitcnt vmcnt(0)
	ds_write2_b64 v24, v[29:30], v[31:32] offset1:1
.LBB47_13:                              ;   in Loop: Header=BB47_8 Depth=1
	s_andn2_b64 vcc, exec, s[34:35]
	s_cbranch_vccnz .LBB47_15
; %bb.14:                               ;   in Loop: Header=BB47_8 Depth=1
	s_ashr_i32 s31, s30, 31
	s_lshl_b64 s[30:31], s[30:31], 4
	v_mov_b32_e32 v12, s31
	v_add_co_u32_e32 v11, vcc, s30, v25
	v_addc_co_u32_e32 v12, vcc, v26, v12, vcc
	global_load_dwordx4 v[29:32], v[11:12], off
	s_waitcnt vmcnt(0)
	ds_write2_b64 v24, v[29:30], v[31:32] offset1:1
.LBB47_15:                              ;   in Loop: Header=BB47_8 Depth=1
	s_or_b64 exec, exec, s[16:17]
	s_and_saveexec_b64 s[16:17], s[26:27]
	s_cbranch_execz .LBB47_7
; %bb.16:                               ;   in Loop: Header=BB47_8 Depth=1
	v_ashrrev_i32_e32 v17, 31, v16
	v_lshlrev_b64 v[11:12], 4, v[16:17]
	v_mov_b32_e32 v13, s15
	v_add_co_u32_e32 v11, vcc, s14, v11
	v_addc_co_u32_e32 v12, vcc, v13, v12, vcc
	global_load_dwordx4 v[29:32], v[11:12], off
	s_waitcnt vmcnt(0)
	ds_write2_b64 v27, v[29:30], v[31:32] offset1:1
	s_branch .LBB47_7
.LBB47_17:
	s_and_b64 s[0:1], s[22:23], s[0:1]
	s_and_b64 s[0:1], s[0:1], s[2:3]
	s_and_b64 exec, exec, s[0:1]
	s_cbranch_execz .LBB47_22
; %bb.18:
	v_mul_f64 v[10:11], v[18:19], -v[8:9]
	v_mul_f64 v[12:13], v[6:7], v[18:19]
	s_load_dwordx2 s[2:3], s[4:5], 0x68
	v_cmp_neq_f64_e32 vcc, 0, v[2:3]
	v_cmp_neq_f64_e64 s[0:1], 0, v[4:5]
	v_lshl_add_u32 v0, s6, 2, v0
	s_waitcnt lgkmcnt(0)
	v_mul_lo_u32 v1, s3, v14
	v_fma_f64 v[6:7], v[6:7], v[20:21], v[10:11]
	v_fma_f64 v[8:9], v[8:9], v[20:21], v[12:13]
	v_mul_lo_u32 v16, s2, v15
	v_mad_u64_u32 v[14:15], s[2:3], s2, v14, 0
	s_or_b64 s[0:1], vcc, s[0:1]
	v_add3_u32 v15, v15, v16, v1
	v_lshlrev_b64 v[10:11], 4, v[14:15]
	v_ashrrev_i32_e32 v1, 31, v0
	s_and_saveexec_b64 s[2:3], s[0:1]
	s_xor_b64 s[0:1], exec, s[2:3]
	s_cbranch_execz .LBB47_20
; %bb.19:
	v_mov_b32_e32 v12, s11
	v_add_co_u32_e32 v10, vcc, s10, v10
	v_lshlrev_b64 v[0:1], 4, v[0:1]
	v_addc_co_u32_e32 v11, vcc, v12, v11, vcc
	v_add_co_u32_e32 v14, vcc, v10, v0
	v_addc_co_u32_e32 v15, vcc, v11, v1, vcc
	global_load_dwordx4 v[10:13], v[14:15], off
	s_waitcnt vmcnt(0)
	v_fma_f64 v[0:1], v[2:3], v[10:11], v[6:7]
	v_fma_f64 v[6:7], v[4:5], v[10:11], v[8:9]
                                        ; implicit-def: $vgpr10_vgpr11
	v_fma_f64 v[0:1], -v[4:5], v[12:13], v[0:1]
	v_fma_f64 v[2:3], v[2:3], v[12:13], v[6:7]
                                        ; implicit-def: $vgpr6_vgpr7
	global_store_dwordx4 v[14:15], v[0:3], off
                                        ; implicit-def: $vgpr0
.LBB47_20:
	s_andn2_saveexec_b64 s[0:1], s[0:1]
	s_cbranch_execz .LBB47_22
; %bb.21:
	v_mov_b32_e32 v2, s11
	v_add_co_u32_e32 v3, vcc, s10, v10
	v_lshlrev_b64 v[0:1], 4, v[0:1]
	v_addc_co_u32_e32 v2, vcc, v2, v11, vcc
	v_add_co_u32_e32 v0, vcc, v3, v0
	v_addc_co_u32_e32 v1, vcc, v2, v1, vcc
	global_store_dwordx4 v[0:1], v[6:9], off
.LBB47_22:
	s_endpgm
	.section	.rodata,"a",@progbits
	.p2align	6, 0x0
	.amdhsa_kernel _ZN9rocsparseL29gebsrmm_small_blockdim_kernelILi4ELi3ELi4ELi16E21rocsparse_complex_numIdEEEv20rocsparse_direction_20rocsparse_operation_iiNS_24const_host_device_scalarIT3_EEPKiS9_PKS6_iiSB_lS7_PS6_l21rocsparse_index_base_b
		.amdhsa_group_segment_fixed_size 1280
		.amdhsa_private_segment_fixed_size 0
		.amdhsa_kernarg_size 120
		.amdhsa_user_sgpr_count 6
		.amdhsa_user_sgpr_private_segment_buffer 1
		.amdhsa_user_sgpr_dispatch_ptr 0
		.amdhsa_user_sgpr_queue_ptr 0
		.amdhsa_user_sgpr_kernarg_segment_ptr 1
		.amdhsa_user_sgpr_dispatch_id 0
		.amdhsa_user_sgpr_flat_scratch_init 0
		.amdhsa_user_sgpr_private_segment_size 0
		.amdhsa_uses_dynamic_stack 0
		.amdhsa_system_sgpr_private_segment_wavefront_offset 0
		.amdhsa_system_sgpr_workgroup_id_x 1
		.amdhsa_system_sgpr_workgroup_id_y 1
		.amdhsa_system_sgpr_workgroup_id_z 0
		.amdhsa_system_sgpr_workgroup_info 0
		.amdhsa_system_vgpr_workitem_id 1
		.amdhsa_next_free_vgpr 37
		.amdhsa_next_free_sgpr 36
		.amdhsa_reserve_vcc 1
		.amdhsa_reserve_flat_scratch 0
		.amdhsa_float_round_mode_32 0
		.amdhsa_float_round_mode_16_64 0
		.amdhsa_float_denorm_mode_32 3
		.amdhsa_float_denorm_mode_16_64 3
		.amdhsa_dx10_clamp 1
		.amdhsa_ieee_mode 1
		.amdhsa_fp16_overflow 0
		.amdhsa_exception_fp_ieee_invalid_op 0
		.amdhsa_exception_fp_denorm_src 0
		.amdhsa_exception_fp_ieee_div_zero 0
		.amdhsa_exception_fp_ieee_overflow 0
		.amdhsa_exception_fp_ieee_underflow 0
		.amdhsa_exception_fp_ieee_inexact 0
		.amdhsa_exception_int_div_zero 0
	.end_amdhsa_kernel
	.section	.text._ZN9rocsparseL29gebsrmm_small_blockdim_kernelILi4ELi3ELi4ELi16E21rocsparse_complex_numIdEEEv20rocsparse_direction_20rocsparse_operation_iiNS_24const_host_device_scalarIT3_EEPKiS9_PKS6_iiSB_lS7_PS6_l21rocsparse_index_base_b,"axG",@progbits,_ZN9rocsparseL29gebsrmm_small_blockdim_kernelILi4ELi3ELi4ELi16E21rocsparse_complex_numIdEEEv20rocsparse_direction_20rocsparse_operation_iiNS_24const_host_device_scalarIT3_EEPKiS9_PKS6_iiSB_lS7_PS6_l21rocsparse_index_base_b,comdat
.Lfunc_end47:
	.size	_ZN9rocsparseL29gebsrmm_small_blockdim_kernelILi4ELi3ELi4ELi16E21rocsparse_complex_numIdEEEv20rocsparse_direction_20rocsparse_operation_iiNS_24const_host_device_scalarIT3_EEPKiS9_PKS6_iiSB_lS7_PS6_l21rocsparse_index_base_b, .Lfunc_end47-_ZN9rocsparseL29gebsrmm_small_blockdim_kernelILi4ELi3ELi4ELi16E21rocsparse_complex_numIdEEEv20rocsparse_direction_20rocsparse_operation_iiNS_24const_host_device_scalarIT3_EEPKiS9_PKS6_iiSB_lS7_PS6_l21rocsparse_index_base_b
                                        ; -- End function
	.set _ZN9rocsparseL29gebsrmm_small_blockdim_kernelILi4ELi3ELi4ELi16E21rocsparse_complex_numIdEEEv20rocsparse_direction_20rocsparse_operation_iiNS_24const_host_device_scalarIT3_EEPKiS9_PKS6_iiSB_lS7_PS6_l21rocsparse_index_base_b.num_vgpr, 37
	.set _ZN9rocsparseL29gebsrmm_small_blockdim_kernelILi4ELi3ELi4ELi16E21rocsparse_complex_numIdEEEv20rocsparse_direction_20rocsparse_operation_iiNS_24const_host_device_scalarIT3_EEPKiS9_PKS6_iiSB_lS7_PS6_l21rocsparse_index_base_b.num_agpr, 0
	.set _ZN9rocsparseL29gebsrmm_small_blockdim_kernelILi4ELi3ELi4ELi16E21rocsparse_complex_numIdEEEv20rocsparse_direction_20rocsparse_operation_iiNS_24const_host_device_scalarIT3_EEPKiS9_PKS6_iiSB_lS7_PS6_l21rocsparse_index_base_b.numbered_sgpr, 36
	.set _ZN9rocsparseL29gebsrmm_small_blockdim_kernelILi4ELi3ELi4ELi16E21rocsparse_complex_numIdEEEv20rocsparse_direction_20rocsparse_operation_iiNS_24const_host_device_scalarIT3_EEPKiS9_PKS6_iiSB_lS7_PS6_l21rocsparse_index_base_b.num_named_barrier, 0
	.set _ZN9rocsparseL29gebsrmm_small_blockdim_kernelILi4ELi3ELi4ELi16E21rocsparse_complex_numIdEEEv20rocsparse_direction_20rocsparse_operation_iiNS_24const_host_device_scalarIT3_EEPKiS9_PKS6_iiSB_lS7_PS6_l21rocsparse_index_base_b.private_seg_size, 0
	.set _ZN9rocsparseL29gebsrmm_small_blockdim_kernelILi4ELi3ELi4ELi16E21rocsparse_complex_numIdEEEv20rocsparse_direction_20rocsparse_operation_iiNS_24const_host_device_scalarIT3_EEPKiS9_PKS6_iiSB_lS7_PS6_l21rocsparse_index_base_b.uses_vcc, 1
	.set _ZN9rocsparseL29gebsrmm_small_blockdim_kernelILi4ELi3ELi4ELi16E21rocsparse_complex_numIdEEEv20rocsparse_direction_20rocsparse_operation_iiNS_24const_host_device_scalarIT3_EEPKiS9_PKS6_iiSB_lS7_PS6_l21rocsparse_index_base_b.uses_flat_scratch, 0
	.set _ZN9rocsparseL29gebsrmm_small_blockdim_kernelILi4ELi3ELi4ELi16E21rocsparse_complex_numIdEEEv20rocsparse_direction_20rocsparse_operation_iiNS_24const_host_device_scalarIT3_EEPKiS9_PKS6_iiSB_lS7_PS6_l21rocsparse_index_base_b.has_dyn_sized_stack, 0
	.set _ZN9rocsparseL29gebsrmm_small_blockdim_kernelILi4ELi3ELi4ELi16E21rocsparse_complex_numIdEEEv20rocsparse_direction_20rocsparse_operation_iiNS_24const_host_device_scalarIT3_EEPKiS9_PKS6_iiSB_lS7_PS6_l21rocsparse_index_base_b.has_recursion, 0
	.set _ZN9rocsparseL29gebsrmm_small_blockdim_kernelILi4ELi3ELi4ELi16E21rocsparse_complex_numIdEEEv20rocsparse_direction_20rocsparse_operation_iiNS_24const_host_device_scalarIT3_EEPKiS9_PKS6_iiSB_lS7_PS6_l21rocsparse_index_base_b.has_indirect_call, 0
	.section	.AMDGPU.csdata,"",@progbits
; Kernel info:
; codeLenInByte = 1260
; TotalNumSgprs: 40
; NumVgprs: 37
; ScratchSize: 0
; MemoryBound: 0
; FloatMode: 240
; IeeeMode: 1
; LDSByteSize: 1280 bytes/workgroup (compile time only)
; SGPRBlocks: 4
; VGPRBlocks: 9
; NumSGPRsForWavesPerEU: 40
; NumVGPRsForWavesPerEU: 37
; Occupancy: 6
; WaveLimiterHint : 0
; COMPUTE_PGM_RSRC2:SCRATCH_EN: 0
; COMPUTE_PGM_RSRC2:USER_SGPR: 6
; COMPUTE_PGM_RSRC2:TRAP_HANDLER: 0
; COMPUTE_PGM_RSRC2:TGID_X_EN: 1
; COMPUTE_PGM_RSRC2:TGID_Y_EN: 1
; COMPUTE_PGM_RSRC2:TGID_Z_EN: 0
; COMPUTE_PGM_RSRC2:TIDIG_COMP_CNT: 1
	.section	.AMDGPU.gpr_maximums,"",@progbits
	.set amdgpu.max_num_vgpr, 0
	.set amdgpu.max_num_agpr, 0
	.set amdgpu.max_num_sgpr, 0
	.section	.AMDGPU.csdata,"",@progbits
	.type	__hip_cuid_e146f72efef0820a,@object ; @__hip_cuid_e146f72efef0820a
	.section	.bss,"aw",@nobits
	.globl	__hip_cuid_e146f72efef0820a
__hip_cuid_e146f72efef0820a:
	.byte	0                               ; 0x0
	.size	__hip_cuid_e146f72efef0820a, 1

	.ident	"AMD clang version 22.0.0git (https://github.com/RadeonOpenCompute/llvm-project roc-7.2.4 26084 f58b06dce1f9c15707c5f808fd002e18c2accf7e)"
	.section	".note.GNU-stack","",@progbits
	.addrsig
	.addrsig_sym __hip_cuid_e146f72efef0820a
	.amdgpu_metadata
---
amdhsa.kernels:
  - .args:
      - .offset:         0
        .size:           4
        .value_kind:     by_value
      - .offset:         4
        .size:           4
        .value_kind:     by_value
      - .offset:         8
        .size:           4
        .value_kind:     by_value
      - .offset:         12
        .size:           4
        .value_kind:     by_value
      - .offset:         16
        .size:           8
        .value_kind:     by_value
      - .actual_access:  read_only
        .address_space:  global
        .offset:         24
        .size:           8
        .value_kind:     global_buffer
      - .actual_access:  read_only
        .address_space:  global
        .offset:         32
        .size:           8
        .value_kind:     global_buffer
      - .actual_access:  read_only
        .address_space:  global
        .offset:         40
        .size:           8
        .value_kind:     global_buffer
      - .offset:         48
        .size:           4
        .value_kind:     by_value
      - .offset:         52
        .size:           4
        .value_kind:     by_value
      - .actual_access:  read_only
        .address_space:  global
        .offset:         56
        .size:           8
        .value_kind:     global_buffer
      - .offset:         64
        .size:           8
        .value_kind:     by_value
      - .offset:         72
        .size:           8
        .value_kind:     by_value
      - .address_space:  global
        .offset:         80
        .size:           8
        .value_kind:     global_buffer
      - .offset:         88
        .size:           8
        .value_kind:     by_value
      - .offset:         96
        .size:           4
        .value_kind:     by_value
      - .offset:         100
        .size:           1
        .value_kind:     by_value
    .group_segment_fixed_size: 144
    .kernarg_segment_align: 8
    .kernarg_segment_size: 104
    .language:       OpenCL C
    .language_version:
      - 2
      - 0
    .max_flat_workgroup_size: 32
    .name:           _ZN9rocsparseL29gebsrmm_small_blockdim_kernelILi1ELi2ELi2ELi16EfEEv20rocsparse_direction_20rocsparse_operation_iiNS_24const_host_device_scalarIT3_EEPKiS7_PKS4_iiS9_lS5_PS4_l21rocsparse_index_base_b
    .private_segment_fixed_size: 0
    .sgpr_count:     44
    .sgpr_spill_count: 0
    .symbol:         _ZN9rocsparseL29gebsrmm_small_blockdim_kernelILi1ELi2ELi2ELi16EfEEv20rocsparse_direction_20rocsparse_operation_iiNS_24const_host_device_scalarIT3_EEPKiS7_PKS4_iiS9_lS5_PS4_l21rocsparse_index_base_b.kd
    .uniform_work_group_size: 1
    .uses_dynamic_stack: false
    .vgpr_count:     19
    .vgpr_spill_count: 0
    .wavefront_size: 64
  - .args:
      - .offset:         0
        .size:           4
        .value_kind:     by_value
      - .offset:         4
        .size:           4
        .value_kind:     by_value
      - .offset:         8
        .size:           4
        .value_kind:     by_value
      - .offset:         12
        .size:           4
        .value_kind:     by_value
      - .offset:         16
        .size:           8
        .value_kind:     by_value
      - .actual_access:  read_only
        .address_space:  global
        .offset:         24
        .size:           8
        .value_kind:     global_buffer
      - .actual_access:  read_only
        .address_space:  global
        .offset:         32
        .size:           8
        .value_kind:     global_buffer
      - .actual_access:  read_only
        .address_space:  global
        .offset:         40
        .size:           8
        .value_kind:     global_buffer
      - .offset:         48
        .size:           4
        .value_kind:     by_value
      - .offset:         52
        .size:           4
        .value_kind:     by_value
      - .actual_access:  read_only
        .address_space:  global
        .offset:         56
        .size:           8
        .value_kind:     global_buffer
      - .offset:         64
        .size:           8
        .value_kind:     by_value
      - .offset:         72
        .size:           8
        .value_kind:     by_value
      - .address_space:  global
        .offset:         80
        .size:           8
        .value_kind:     global_buffer
      - .offset:         88
        .size:           8
        .value_kind:     by_value
      - .offset:         96
        .size:           4
        .value_kind:     by_value
      - .offset:         100
        .size:           1
        .value_kind:     by_value
    .group_segment_fixed_size: 228
    .kernarg_segment_align: 8
    .kernarg_segment_size: 104
    .language:       OpenCL C
    .language_version:
      - 2
      - 0
    .max_flat_workgroup_size: 48
    .name:           _ZN9rocsparseL29gebsrmm_small_blockdim_kernelILi1ELi3ELi3ELi16EfEEv20rocsparse_direction_20rocsparse_operation_iiNS_24const_host_device_scalarIT3_EEPKiS7_PKS4_iiS9_lS5_PS4_l21rocsparse_index_base_b
    .private_segment_fixed_size: 0
    .sgpr_count:     44
    .sgpr_spill_count: 0
    .symbol:         _ZN9rocsparseL29gebsrmm_small_blockdim_kernelILi1ELi3ELi3ELi16EfEEv20rocsparse_direction_20rocsparse_operation_iiNS_24const_host_device_scalarIT3_EEPKiS7_PKS4_iiS9_lS5_PS4_l21rocsparse_index_base_b.kd
    .uniform_work_group_size: 1
    .uses_dynamic_stack: false
    .vgpr_count:     19
    .vgpr_spill_count: 0
    .wavefront_size: 64
  - .args:
      - .offset:         0
        .size:           4
        .value_kind:     by_value
      - .offset:         4
        .size:           4
        .value_kind:     by_value
      - .offset:         8
        .size:           4
        .value_kind:     by_value
      - .offset:         12
        .size:           4
        .value_kind:     by_value
      - .offset:         16
        .size:           8
        .value_kind:     by_value
      - .actual_access:  read_only
        .address_space:  global
        .offset:         24
        .size:           8
        .value_kind:     global_buffer
      - .actual_access:  read_only
        .address_space:  global
        .offset:         32
        .size:           8
        .value_kind:     global_buffer
      - .actual_access:  read_only
        .address_space:  global
        .offset:         40
        .size:           8
        .value_kind:     global_buffer
      - .offset:         48
        .size:           4
        .value_kind:     by_value
      - .offset:         52
        .size:           4
        .value_kind:     by_value
      - .actual_access:  read_only
        .address_space:  global
        .offset:         56
        .size:           8
        .value_kind:     global_buffer
      - .offset:         64
        .size:           8
        .value_kind:     by_value
      - .offset:         72
        .size:           8
        .value_kind:     by_value
      - .address_space:  global
        .offset:         80
        .size:           8
        .value_kind:     global_buffer
      - .offset:         88
        .size:           8
        .value_kind:     by_value
      - .offset:         96
        .size:           4
        .value_kind:     by_value
      - .offset:         100
        .size:           1
        .value_kind:     by_value
    .group_segment_fixed_size: 320
    .kernarg_segment_align: 8
    .kernarg_segment_size: 104
    .language:       OpenCL C
    .language_version:
      - 2
      - 0
    .max_flat_workgroup_size: 64
    .name:           _ZN9rocsparseL29gebsrmm_small_blockdim_kernelILi1ELi4ELi4ELi16EfEEv20rocsparse_direction_20rocsparse_operation_iiNS_24const_host_device_scalarIT3_EEPKiS7_PKS4_iiS9_lS5_PS4_l21rocsparse_index_base_b
    .private_segment_fixed_size: 0
    .sgpr_count:     44
    .sgpr_spill_count: 0
    .symbol:         _ZN9rocsparseL29gebsrmm_small_blockdim_kernelILi1ELi4ELi4ELi16EfEEv20rocsparse_direction_20rocsparse_operation_iiNS_24const_host_device_scalarIT3_EEPKiS7_PKS4_iiS9_lS5_PS4_l21rocsparse_index_base_b.kd
    .uniform_work_group_size: 1
    .uses_dynamic_stack: false
    .vgpr_count:     23
    .vgpr_spill_count: 0
    .wavefront_size: 64
  - .args:
      - .offset:         0
        .size:           4
        .value_kind:     by_value
      - .offset:         4
        .size:           4
        .value_kind:     by_value
      - .offset:         8
        .size:           4
        .value_kind:     by_value
      - .offset:         12
        .size:           4
        .value_kind:     by_value
      - .offset:         16
        .size:           8
        .value_kind:     by_value
      - .actual_access:  read_only
        .address_space:  global
        .offset:         24
        .size:           8
        .value_kind:     global_buffer
      - .actual_access:  read_only
        .address_space:  global
        .offset:         32
        .size:           8
        .value_kind:     global_buffer
      - .actual_access:  read_only
        .address_space:  global
        .offset:         40
        .size:           8
        .value_kind:     global_buffer
      - .offset:         48
        .size:           4
        .value_kind:     by_value
      - .offset:         52
        .size:           4
        .value_kind:     by_value
      - .actual_access:  read_only
        .address_space:  global
        .offset:         56
        .size:           8
        .value_kind:     global_buffer
      - .offset:         64
        .size:           8
        .value_kind:     by_value
      - .offset:         72
        .size:           8
        .value_kind:     by_value
      - .address_space:  global
        .offset:         80
        .size:           8
        .value_kind:     global_buffer
      - .offset:         88
        .size:           8
        .value_kind:     by_value
      - .offset:         96
        .size:           4
        .value_kind:     by_value
      - .offset:         100
        .size:           1
        .value_kind:     by_value
    .group_segment_fixed_size: 144
    .kernarg_segment_align: 8
    .kernarg_segment_size: 104
    .language:       OpenCL C
    .language_version:
      - 2
      - 0
    .max_flat_workgroup_size: 32
    .name:           _ZN9rocsparseL29gebsrmm_small_blockdim_kernelILi2ELi1ELi2ELi16EfEEv20rocsparse_direction_20rocsparse_operation_iiNS_24const_host_device_scalarIT3_EEPKiS7_PKS4_iiS9_lS5_PS4_l21rocsparse_index_base_b
    .private_segment_fixed_size: 0
    .sgpr_count:     44
    .sgpr_spill_count: 0
    .symbol:         _ZN9rocsparseL29gebsrmm_small_blockdim_kernelILi2ELi1ELi2ELi16EfEEv20rocsparse_direction_20rocsparse_operation_iiNS_24const_host_device_scalarIT3_EEPKiS7_PKS4_iiS9_lS5_PS4_l21rocsparse_index_base_b.kd
    .uniform_work_group_size: 1
    .uses_dynamic_stack: false
    .vgpr_count:     16
    .vgpr_spill_count: 0
    .wavefront_size: 64
  - .args:
      - .offset:         0
        .size:           4
        .value_kind:     by_value
      - .offset:         4
        .size:           4
        .value_kind:     by_value
      - .offset:         8
        .size:           4
        .value_kind:     by_value
      - .offset:         12
        .size:           4
        .value_kind:     by_value
      - .offset:         16
        .size:           8
        .value_kind:     by_value
      - .actual_access:  read_only
        .address_space:  global
        .offset:         24
        .size:           8
        .value_kind:     global_buffer
      - .actual_access:  read_only
        .address_space:  global
        .offset:         32
        .size:           8
        .value_kind:     global_buffer
      - .actual_access:  read_only
        .address_space:  global
        .offset:         40
        .size:           8
        .value_kind:     global_buffer
      - .offset:         48
        .size:           4
        .value_kind:     by_value
      - .offset:         52
        .size:           4
        .value_kind:     by_value
      - .actual_access:  read_only
        .address_space:  global
        .offset:         56
        .size:           8
        .value_kind:     global_buffer
      - .offset:         64
        .size:           8
        .value_kind:     by_value
      - .offset:         72
        .size:           8
        .value_kind:     by_value
      - .address_space:  global
        .offset:         80
        .size:           8
        .value_kind:     global_buffer
      - .offset:         88
        .size:           8
        .value_kind:     by_value
      - .offset:         96
        .size:           4
        .value_kind:     by_value
      - .offset:         100
        .size:           1
        .value_kind:     by_value
    .group_segment_fixed_size: 228
    .kernarg_segment_align: 8
    .kernarg_segment_size: 104
    .language:       OpenCL C
    .language_version:
      - 2
      - 0
    .max_flat_workgroup_size: 48
    .name:           _ZN9rocsparseL29gebsrmm_small_blockdim_kernelILi2ELi3ELi3ELi16EfEEv20rocsparse_direction_20rocsparse_operation_iiNS_24const_host_device_scalarIT3_EEPKiS7_PKS4_iiS9_lS5_PS4_l21rocsparse_index_base_b
    .private_segment_fixed_size: 0
    .sgpr_count:     44
    .sgpr_spill_count: 0
    .symbol:         _ZN9rocsparseL29gebsrmm_small_blockdim_kernelILi2ELi3ELi3ELi16EfEEv20rocsparse_direction_20rocsparse_operation_iiNS_24const_host_device_scalarIT3_EEPKiS7_PKS4_iiS9_lS5_PS4_l21rocsparse_index_base_b.kd
    .uniform_work_group_size: 1
    .uses_dynamic_stack: false
    .vgpr_count:     19
    .vgpr_spill_count: 0
    .wavefront_size: 64
  - .args:
      - .offset:         0
        .size:           4
        .value_kind:     by_value
      - .offset:         4
        .size:           4
        .value_kind:     by_value
      - .offset:         8
        .size:           4
        .value_kind:     by_value
      - .offset:         12
        .size:           4
        .value_kind:     by_value
      - .offset:         16
        .size:           8
        .value_kind:     by_value
      - .actual_access:  read_only
        .address_space:  global
        .offset:         24
        .size:           8
        .value_kind:     global_buffer
      - .actual_access:  read_only
        .address_space:  global
        .offset:         32
        .size:           8
        .value_kind:     global_buffer
      - .actual_access:  read_only
        .address_space:  global
        .offset:         40
        .size:           8
        .value_kind:     global_buffer
      - .offset:         48
        .size:           4
        .value_kind:     by_value
      - .offset:         52
        .size:           4
        .value_kind:     by_value
      - .actual_access:  read_only
        .address_space:  global
        .offset:         56
        .size:           8
        .value_kind:     global_buffer
      - .offset:         64
        .size:           8
        .value_kind:     by_value
      - .offset:         72
        .size:           8
        .value_kind:     by_value
      - .address_space:  global
        .offset:         80
        .size:           8
        .value_kind:     global_buffer
      - .offset:         88
        .size:           8
        .value_kind:     by_value
      - .offset:         96
        .size:           4
        .value_kind:     by_value
      - .offset:         100
        .size:           1
        .value_kind:     by_value
    .group_segment_fixed_size: 320
    .kernarg_segment_align: 8
    .kernarg_segment_size: 104
    .language:       OpenCL C
    .language_version:
      - 2
      - 0
    .max_flat_workgroup_size: 64
    .name:           _ZN9rocsparseL29gebsrmm_small_blockdim_kernelILi2ELi4ELi4ELi16EfEEv20rocsparse_direction_20rocsparse_operation_iiNS_24const_host_device_scalarIT3_EEPKiS7_PKS4_iiS9_lS5_PS4_l21rocsparse_index_base_b
    .private_segment_fixed_size: 0
    .sgpr_count:     44
    .sgpr_spill_count: 0
    .symbol:         _ZN9rocsparseL29gebsrmm_small_blockdim_kernelILi2ELi4ELi4ELi16EfEEv20rocsparse_direction_20rocsparse_operation_iiNS_24const_host_device_scalarIT3_EEPKiS7_PKS4_iiS9_lS5_PS4_l21rocsparse_index_base_b.kd
    .uniform_work_group_size: 1
    .uses_dynamic_stack: false
    .vgpr_count:     22
    .vgpr_spill_count: 0
    .wavefront_size: 64
  - .args:
      - .offset:         0
        .size:           4
        .value_kind:     by_value
      - .offset:         4
        .size:           4
        .value_kind:     by_value
      - .offset:         8
        .size:           4
        .value_kind:     by_value
      - .offset:         12
        .size:           4
        .value_kind:     by_value
      - .offset:         16
        .size:           8
        .value_kind:     by_value
      - .actual_access:  read_only
        .address_space:  global
        .offset:         24
        .size:           8
        .value_kind:     global_buffer
      - .actual_access:  read_only
        .address_space:  global
        .offset:         32
        .size:           8
        .value_kind:     global_buffer
      - .actual_access:  read_only
        .address_space:  global
        .offset:         40
        .size:           8
        .value_kind:     global_buffer
      - .offset:         48
        .size:           4
        .value_kind:     by_value
      - .offset:         52
        .size:           4
        .value_kind:     by_value
      - .actual_access:  read_only
        .address_space:  global
        .offset:         56
        .size:           8
        .value_kind:     global_buffer
      - .offset:         64
        .size:           8
        .value_kind:     by_value
      - .offset:         72
        .size:           8
        .value_kind:     by_value
      - .address_space:  global
        .offset:         80
        .size:           8
        .value_kind:     global_buffer
      - .offset:         88
        .size:           8
        .value_kind:     by_value
      - .offset:         96
        .size:           4
        .value_kind:     by_value
      - .offset:         100
        .size:           1
        .value_kind:     by_value
    .group_segment_fixed_size: 228
    .kernarg_segment_align: 8
    .kernarg_segment_size: 104
    .language:       OpenCL C
    .language_version:
      - 2
      - 0
    .max_flat_workgroup_size: 48
    .name:           _ZN9rocsparseL29gebsrmm_small_blockdim_kernelILi3ELi1ELi3ELi16EfEEv20rocsparse_direction_20rocsparse_operation_iiNS_24const_host_device_scalarIT3_EEPKiS7_PKS4_iiS9_lS5_PS4_l21rocsparse_index_base_b
    .private_segment_fixed_size: 0
    .sgpr_count:     44
    .sgpr_spill_count: 0
    .symbol:         _ZN9rocsparseL29gebsrmm_small_blockdim_kernelILi3ELi1ELi3ELi16EfEEv20rocsparse_direction_20rocsparse_operation_iiNS_24const_host_device_scalarIT3_EEPKiS7_PKS4_iiS9_lS5_PS4_l21rocsparse_index_base_b.kd
    .uniform_work_group_size: 1
    .uses_dynamic_stack: false
    .vgpr_count:     16
    .vgpr_spill_count: 0
    .wavefront_size: 64
  - .args:
      - .offset:         0
        .size:           4
        .value_kind:     by_value
      - .offset:         4
        .size:           4
        .value_kind:     by_value
      - .offset:         8
        .size:           4
        .value_kind:     by_value
      - .offset:         12
        .size:           4
        .value_kind:     by_value
      - .offset:         16
        .size:           8
        .value_kind:     by_value
      - .actual_access:  read_only
        .address_space:  global
        .offset:         24
        .size:           8
        .value_kind:     global_buffer
      - .actual_access:  read_only
        .address_space:  global
        .offset:         32
        .size:           8
        .value_kind:     global_buffer
      - .actual_access:  read_only
        .address_space:  global
        .offset:         40
        .size:           8
        .value_kind:     global_buffer
      - .offset:         48
        .size:           4
        .value_kind:     by_value
      - .offset:         52
        .size:           4
        .value_kind:     by_value
      - .actual_access:  read_only
        .address_space:  global
        .offset:         56
        .size:           8
        .value_kind:     global_buffer
      - .offset:         64
        .size:           8
        .value_kind:     by_value
      - .offset:         72
        .size:           8
        .value_kind:     by_value
      - .address_space:  global
        .offset:         80
        .size:           8
        .value_kind:     global_buffer
      - .offset:         88
        .size:           8
        .value_kind:     by_value
      - .offset:         96
        .size:           4
        .value_kind:     by_value
      - .offset:         100
        .size:           1
        .value_kind:     by_value
    .group_segment_fixed_size: 228
    .kernarg_segment_align: 8
    .kernarg_segment_size: 104
    .language:       OpenCL C
    .language_version:
      - 2
      - 0
    .max_flat_workgroup_size: 48
    .name:           _ZN9rocsparseL29gebsrmm_small_blockdim_kernelILi3ELi2ELi3ELi16EfEEv20rocsparse_direction_20rocsparse_operation_iiNS_24const_host_device_scalarIT3_EEPKiS7_PKS4_iiS9_lS5_PS4_l21rocsparse_index_base_b
    .private_segment_fixed_size: 0
    .sgpr_count:     44
    .sgpr_spill_count: 0
    .symbol:         _ZN9rocsparseL29gebsrmm_small_blockdim_kernelILi3ELi2ELi3ELi16EfEEv20rocsparse_direction_20rocsparse_operation_iiNS_24const_host_device_scalarIT3_EEPKiS7_PKS4_iiS9_lS5_PS4_l21rocsparse_index_base_b.kd
    .uniform_work_group_size: 1
    .uses_dynamic_stack: false
    .vgpr_count:     18
    .vgpr_spill_count: 0
    .wavefront_size: 64
  - .args:
      - .offset:         0
        .size:           4
        .value_kind:     by_value
      - .offset:         4
        .size:           4
        .value_kind:     by_value
      - .offset:         8
        .size:           4
        .value_kind:     by_value
      - .offset:         12
        .size:           4
        .value_kind:     by_value
      - .offset:         16
        .size:           8
        .value_kind:     by_value
      - .actual_access:  read_only
        .address_space:  global
        .offset:         24
        .size:           8
        .value_kind:     global_buffer
      - .actual_access:  read_only
        .address_space:  global
        .offset:         32
        .size:           8
        .value_kind:     global_buffer
      - .actual_access:  read_only
        .address_space:  global
        .offset:         40
        .size:           8
        .value_kind:     global_buffer
      - .offset:         48
        .size:           4
        .value_kind:     by_value
      - .offset:         52
        .size:           4
        .value_kind:     by_value
      - .actual_access:  read_only
        .address_space:  global
        .offset:         56
        .size:           8
        .value_kind:     global_buffer
      - .offset:         64
        .size:           8
        .value_kind:     by_value
      - .offset:         72
        .size:           8
        .value_kind:     by_value
      - .address_space:  global
        .offset:         80
        .size:           8
        .value_kind:     global_buffer
      - .offset:         88
        .size:           8
        .value_kind:     by_value
      - .offset:         96
        .size:           4
        .value_kind:     by_value
      - .offset:         100
        .size:           1
        .value_kind:     by_value
    .group_segment_fixed_size: 320
    .kernarg_segment_align: 8
    .kernarg_segment_size: 104
    .language:       OpenCL C
    .language_version:
      - 2
      - 0
    .max_flat_workgroup_size: 64
    .name:           _ZN9rocsparseL29gebsrmm_small_blockdim_kernelILi3ELi4ELi4ELi16EfEEv20rocsparse_direction_20rocsparse_operation_iiNS_24const_host_device_scalarIT3_EEPKiS7_PKS4_iiS9_lS5_PS4_l21rocsparse_index_base_b
    .private_segment_fixed_size: 0
    .sgpr_count:     44
    .sgpr_spill_count: 0
    .symbol:         _ZN9rocsparseL29gebsrmm_small_blockdim_kernelILi3ELi4ELi4ELi16EfEEv20rocsparse_direction_20rocsparse_operation_iiNS_24const_host_device_scalarIT3_EEPKiS7_PKS4_iiS9_lS5_PS4_l21rocsparse_index_base_b.kd
    .uniform_work_group_size: 1
    .uses_dynamic_stack: false
    .vgpr_count:     22
    .vgpr_spill_count: 0
    .wavefront_size: 64
  - .args:
      - .offset:         0
        .size:           4
        .value_kind:     by_value
      - .offset:         4
        .size:           4
        .value_kind:     by_value
      - .offset:         8
        .size:           4
        .value_kind:     by_value
      - .offset:         12
        .size:           4
        .value_kind:     by_value
      - .offset:         16
        .size:           8
        .value_kind:     by_value
      - .actual_access:  read_only
        .address_space:  global
        .offset:         24
        .size:           8
        .value_kind:     global_buffer
      - .actual_access:  read_only
        .address_space:  global
        .offset:         32
        .size:           8
        .value_kind:     global_buffer
      - .actual_access:  read_only
        .address_space:  global
        .offset:         40
        .size:           8
        .value_kind:     global_buffer
      - .offset:         48
        .size:           4
        .value_kind:     by_value
      - .offset:         52
        .size:           4
        .value_kind:     by_value
      - .actual_access:  read_only
        .address_space:  global
        .offset:         56
        .size:           8
        .value_kind:     global_buffer
      - .offset:         64
        .size:           8
        .value_kind:     by_value
      - .offset:         72
        .size:           8
        .value_kind:     by_value
      - .address_space:  global
        .offset:         80
        .size:           8
        .value_kind:     global_buffer
      - .offset:         88
        .size:           8
        .value_kind:     by_value
      - .offset:         96
        .size:           4
        .value_kind:     by_value
      - .offset:         100
        .size:           1
        .value_kind:     by_value
    .group_segment_fixed_size: 320
    .kernarg_segment_align: 8
    .kernarg_segment_size: 104
    .language:       OpenCL C
    .language_version:
      - 2
      - 0
    .max_flat_workgroup_size: 64
    .name:           _ZN9rocsparseL29gebsrmm_small_blockdim_kernelILi4ELi1ELi4ELi16EfEEv20rocsparse_direction_20rocsparse_operation_iiNS_24const_host_device_scalarIT3_EEPKiS7_PKS4_iiS9_lS5_PS4_l21rocsparse_index_base_b
    .private_segment_fixed_size: 0
    .sgpr_count:     44
    .sgpr_spill_count: 0
    .symbol:         _ZN9rocsparseL29gebsrmm_small_blockdim_kernelILi4ELi1ELi4ELi16EfEEv20rocsparse_direction_20rocsparse_operation_iiNS_24const_host_device_scalarIT3_EEPKiS7_PKS4_iiS9_lS5_PS4_l21rocsparse_index_base_b.kd
    .uniform_work_group_size: 1
    .uses_dynamic_stack: false
    .vgpr_count:     16
    .vgpr_spill_count: 0
    .wavefront_size: 64
  - .args:
      - .offset:         0
        .size:           4
        .value_kind:     by_value
      - .offset:         4
        .size:           4
        .value_kind:     by_value
      - .offset:         8
        .size:           4
        .value_kind:     by_value
      - .offset:         12
        .size:           4
        .value_kind:     by_value
      - .offset:         16
        .size:           8
        .value_kind:     by_value
      - .actual_access:  read_only
        .address_space:  global
        .offset:         24
        .size:           8
        .value_kind:     global_buffer
      - .actual_access:  read_only
        .address_space:  global
        .offset:         32
        .size:           8
        .value_kind:     global_buffer
      - .actual_access:  read_only
        .address_space:  global
        .offset:         40
        .size:           8
        .value_kind:     global_buffer
      - .offset:         48
        .size:           4
        .value_kind:     by_value
      - .offset:         52
        .size:           4
        .value_kind:     by_value
      - .actual_access:  read_only
        .address_space:  global
        .offset:         56
        .size:           8
        .value_kind:     global_buffer
      - .offset:         64
        .size:           8
        .value_kind:     by_value
      - .offset:         72
        .size:           8
        .value_kind:     by_value
      - .address_space:  global
        .offset:         80
        .size:           8
        .value_kind:     global_buffer
      - .offset:         88
        .size:           8
        .value_kind:     by_value
      - .offset:         96
        .size:           4
        .value_kind:     by_value
      - .offset:         100
        .size:           1
        .value_kind:     by_value
    .group_segment_fixed_size: 320
    .kernarg_segment_align: 8
    .kernarg_segment_size: 104
    .language:       OpenCL C
    .language_version:
      - 2
      - 0
    .max_flat_workgroup_size: 64
    .name:           _ZN9rocsparseL29gebsrmm_small_blockdim_kernelILi4ELi2ELi4ELi16EfEEv20rocsparse_direction_20rocsparse_operation_iiNS_24const_host_device_scalarIT3_EEPKiS7_PKS4_iiS9_lS5_PS4_l21rocsparse_index_base_b
    .private_segment_fixed_size: 0
    .sgpr_count:     44
    .sgpr_spill_count: 0
    .symbol:         _ZN9rocsparseL29gebsrmm_small_blockdim_kernelILi4ELi2ELi4ELi16EfEEv20rocsparse_direction_20rocsparse_operation_iiNS_24const_host_device_scalarIT3_EEPKiS7_PKS4_iiS9_lS5_PS4_l21rocsparse_index_base_b.kd
    .uniform_work_group_size: 1
    .uses_dynamic_stack: false
    .vgpr_count:     18
    .vgpr_spill_count: 0
    .wavefront_size: 64
  - .args:
      - .offset:         0
        .size:           4
        .value_kind:     by_value
      - .offset:         4
        .size:           4
        .value_kind:     by_value
      - .offset:         8
        .size:           4
        .value_kind:     by_value
      - .offset:         12
        .size:           4
        .value_kind:     by_value
      - .offset:         16
        .size:           8
        .value_kind:     by_value
      - .actual_access:  read_only
        .address_space:  global
        .offset:         24
        .size:           8
        .value_kind:     global_buffer
      - .actual_access:  read_only
        .address_space:  global
        .offset:         32
        .size:           8
        .value_kind:     global_buffer
      - .actual_access:  read_only
        .address_space:  global
        .offset:         40
        .size:           8
        .value_kind:     global_buffer
      - .offset:         48
        .size:           4
        .value_kind:     by_value
      - .offset:         52
        .size:           4
        .value_kind:     by_value
      - .actual_access:  read_only
        .address_space:  global
        .offset:         56
        .size:           8
        .value_kind:     global_buffer
      - .offset:         64
        .size:           8
        .value_kind:     by_value
      - .offset:         72
        .size:           8
        .value_kind:     by_value
      - .address_space:  global
        .offset:         80
        .size:           8
        .value_kind:     global_buffer
      - .offset:         88
        .size:           8
        .value_kind:     by_value
      - .offset:         96
        .size:           4
        .value_kind:     by_value
      - .offset:         100
        .size:           1
        .value_kind:     by_value
    .group_segment_fixed_size: 320
    .kernarg_segment_align: 8
    .kernarg_segment_size: 104
    .language:       OpenCL C
    .language_version:
      - 2
      - 0
    .max_flat_workgroup_size: 64
    .name:           _ZN9rocsparseL29gebsrmm_small_blockdim_kernelILi4ELi3ELi4ELi16EfEEv20rocsparse_direction_20rocsparse_operation_iiNS_24const_host_device_scalarIT3_EEPKiS7_PKS4_iiS9_lS5_PS4_l21rocsparse_index_base_b
    .private_segment_fixed_size: 0
    .sgpr_count:     44
    .sgpr_spill_count: 0
    .symbol:         _ZN9rocsparseL29gebsrmm_small_blockdim_kernelILi4ELi3ELi4ELi16EfEEv20rocsparse_direction_20rocsparse_operation_iiNS_24const_host_device_scalarIT3_EEPKiS7_PKS4_iiS9_lS5_PS4_l21rocsparse_index_base_b.kd
    .uniform_work_group_size: 1
    .uses_dynamic_stack: false
    .vgpr_count:     19
    .vgpr_spill_count: 0
    .wavefront_size: 64
  - .args:
      - .offset:         0
        .size:           4
        .value_kind:     by_value
      - .offset:         4
        .size:           4
        .value_kind:     by_value
      - .offset:         8
        .size:           4
        .value_kind:     by_value
      - .offset:         12
        .size:           4
        .value_kind:     by_value
      - .offset:         16
        .size:           8
        .value_kind:     by_value
      - .actual_access:  read_only
        .address_space:  global
        .offset:         24
        .size:           8
        .value_kind:     global_buffer
      - .actual_access:  read_only
        .address_space:  global
        .offset:         32
        .size:           8
        .value_kind:     global_buffer
      - .actual_access:  read_only
        .address_space:  global
        .offset:         40
        .size:           8
        .value_kind:     global_buffer
      - .offset:         48
        .size:           4
        .value_kind:     by_value
      - .offset:         52
        .size:           4
        .value_kind:     by_value
      - .actual_access:  read_only
        .address_space:  global
        .offset:         56
        .size:           8
        .value_kind:     global_buffer
      - .offset:         64
        .size:           8
        .value_kind:     by_value
      - .offset:         72
        .size:           8
        .value_kind:     by_value
      - .address_space:  global
        .offset:         80
        .size:           8
        .value_kind:     global_buffer
      - .offset:         88
        .size:           8
        .value_kind:     by_value
      - .offset:         96
        .size:           4
        .value_kind:     by_value
      - .offset:         100
        .size:           1
        .value_kind:     by_value
    .group_segment_fixed_size: 288
    .kernarg_segment_align: 8
    .kernarg_segment_size: 104
    .language:       OpenCL C
    .language_version:
      - 2
      - 0
    .max_flat_workgroup_size: 32
    .name:           _ZN9rocsparseL29gebsrmm_small_blockdim_kernelILi1ELi2ELi2ELi16EdEEv20rocsparse_direction_20rocsparse_operation_iiNS_24const_host_device_scalarIT3_EEPKiS7_PKS4_iiS9_lS5_PS4_l21rocsparse_index_base_b
    .private_segment_fixed_size: 0
    .sgpr_count:     40
    .sgpr_spill_count: 0
    .symbol:         _ZN9rocsparseL29gebsrmm_small_blockdim_kernelILi1ELi2ELi2ELi16EdEEv20rocsparse_direction_20rocsparse_operation_iiNS_24const_host_device_scalarIT3_EEPKiS7_PKS4_iiS9_lS5_PS4_l21rocsparse_index_base_b.kd
    .uniform_work_group_size: 1
    .uses_dynamic_stack: false
    .vgpr_count:     29
    .vgpr_spill_count: 0
    .wavefront_size: 64
  - .args:
      - .offset:         0
        .size:           4
        .value_kind:     by_value
      - .offset:         4
        .size:           4
        .value_kind:     by_value
      - .offset:         8
        .size:           4
        .value_kind:     by_value
      - .offset:         12
        .size:           4
        .value_kind:     by_value
      - .offset:         16
        .size:           8
        .value_kind:     by_value
      - .actual_access:  read_only
        .address_space:  global
        .offset:         24
        .size:           8
        .value_kind:     global_buffer
      - .actual_access:  read_only
        .address_space:  global
        .offset:         32
        .size:           8
        .value_kind:     global_buffer
      - .actual_access:  read_only
        .address_space:  global
        .offset:         40
        .size:           8
        .value_kind:     global_buffer
      - .offset:         48
        .size:           4
        .value_kind:     by_value
      - .offset:         52
        .size:           4
        .value_kind:     by_value
      - .actual_access:  read_only
        .address_space:  global
        .offset:         56
        .size:           8
        .value_kind:     global_buffer
      - .offset:         64
        .size:           8
        .value_kind:     by_value
      - .offset:         72
        .size:           8
        .value_kind:     by_value
      - .address_space:  global
        .offset:         80
        .size:           8
        .value_kind:     global_buffer
      - .offset:         88
        .size:           8
        .value_kind:     by_value
      - .offset:         96
        .size:           4
        .value_kind:     by_value
      - .offset:         100
        .size:           1
        .value_kind:     by_value
    .group_segment_fixed_size: 456
    .kernarg_segment_align: 8
    .kernarg_segment_size: 104
    .language:       OpenCL C
    .language_version:
      - 2
      - 0
    .max_flat_workgroup_size: 48
    .name:           _ZN9rocsparseL29gebsrmm_small_blockdim_kernelILi1ELi3ELi3ELi16EdEEv20rocsparse_direction_20rocsparse_operation_iiNS_24const_host_device_scalarIT3_EEPKiS7_PKS4_iiS9_lS5_PS4_l21rocsparse_index_base_b
    .private_segment_fixed_size: 0
    .sgpr_count:     40
    .sgpr_spill_count: 0
    .symbol:         _ZN9rocsparseL29gebsrmm_small_blockdim_kernelILi1ELi3ELi3ELi16EdEEv20rocsparse_direction_20rocsparse_operation_iiNS_24const_host_device_scalarIT3_EEPKiS7_PKS4_iiS9_lS5_PS4_l21rocsparse_index_base_b.kd
    .uniform_work_group_size: 1
    .uses_dynamic_stack: false
    .vgpr_count:     29
    .vgpr_spill_count: 0
    .wavefront_size: 64
  - .args:
      - .offset:         0
        .size:           4
        .value_kind:     by_value
      - .offset:         4
        .size:           4
        .value_kind:     by_value
      - .offset:         8
        .size:           4
        .value_kind:     by_value
      - .offset:         12
        .size:           4
        .value_kind:     by_value
      - .offset:         16
        .size:           8
        .value_kind:     by_value
      - .actual_access:  read_only
        .address_space:  global
        .offset:         24
        .size:           8
        .value_kind:     global_buffer
      - .actual_access:  read_only
        .address_space:  global
        .offset:         32
        .size:           8
        .value_kind:     global_buffer
      - .actual_access:  read_only
        .address_space:  global
        .offset:         40
        .size:           8
        .value_kind:     global_buffer
      - .offset:         48
        .size:           4
        .value_kind:     by_value
      - .offset:         52
        .size:           4
        .value_kind:     by_value
      - .actual_access:  read_only
        .address_space:  global
        .offset:         56
        .size:           8
        .value_kind:     global_buffer
      - .offset:         64
        .size:           8
        .value_kind:     by_value
      - .offset:         72
        .size:           8
        .value_kind:     by_value
      - .address_space:  global
        .offset:         80
        .size:           8
        .value_kind:     global_buffer
      - .offset:         88
        .size:           8
        .value_kind:     by_value
      - .offset:         96
        .size:           4
        .value_kind:     by_value
      - .offset:         100
        .size:           1
        .value_kind:     by_value
    .group_segment_fixed_size: 640
    .kernarg_segment_align: 8
    .kernarg_segment_size: 104
    .language:       OpenCL C
    .language_version:
      - 2
      - 0
    .max_flat_workgroup_size: 64
    .name:           _ZN9rocsparseL29gebsrmm_small_blockdim_kernelILi1ELi4ELi4ELi16EdEEv20rocsparse_direction_20rocsparse_operation_iiNS_24const_host_device_scalarIT3_EEPKiS7_PKS4_iiS9_lS5_PS4_l21rocsparse_index_base_b
    .private_segment_fixed_size: 0
    .sgpr_count:     40
    .sgpr_spill_count: 0
    .symbol:         _ZN9rocsparseL29gebsrmm_small_blockdim_kernelILi1ELi4ELi4ELi16EdEEv20rocsparse_direction_20rocsparse_operation_iiNS_24const_host_device_scalarIT3_EEPKiS7_PKS4_iiS9_lS5_PS4_l21rocsparse_index_base_b.kd
    .uniform_work_group_size: 1
    .uses_dynamic_stack: false
    .vgpr_count:     33
    .vgpr_spill_count: 0
    .wavefront_size: 64
  - .args:
      - .offset:         0
        .size:           4
        .value_kind:     by_value
      - .offset:         4
        .size:           4
        .value_kind:     by_value
      - .offset:         8
        .size:           4
        .value_kind:     by_value
      - .offset:         12
        .size:           4
        .value_kind:     by_value
      - .offset:         16
        .size:           8
        .value_kind:     by_value
      - .actual_access:  read_only
        .address_space:  global
        .offset:         24
        .size:           8
        .value_kind:     global_buffer
      - .actual_access:  read_only
        .address_space:  global
        .offset:         32
        .size:           8
        .value_kind:     global_buffer
      - .actual_access:  read_only
        .address_space:  global
        .offset:         40
        .size:           8
        .value_kind:     global_buffer
      - .offset:         48
        .size:           4
        .value_kind:     by_value
      - .offset:         52
        .size:           4
        .value_kind:     by_value
      - .actual_access:  read_only
        .address_space:  global
        .offset:         56
        .size:           8
        .value_kind:     global_buffer
      - .offset:         64
        .size:           8
        .value_kind:     by_value
      - .offset:         72
        .size:           8
        .value_kind:     by_value
      - .address_space:  global
        .offset:         80
        .size:           8
        .value_kind:     global_buffer
      - .offset:         88
        .size:           8
        .value_kind:     by_value
      - .offset:         96
        .size:           4
        .value_kind:     by_value
      - .offset:         100
        .size:           1
        .value_kind:     by_value
    .group_segment_fixed_size: 288
    .kernarg_segment_align: 8
    .kernarg_segment_size: 104
    .language:       OpenCL C
    .language_version:
      - 2
      - 0
    .max_flat_workgroup_size: 32
    .name:           _ZN9rocsparseL29gebsrmm_small_blockdim_kernelILi2ELi1ELi2ELi16EdEEv20rocsparse_direction_20rocsparse_operation_iiNS_24const_host_device_scalarIT3_EEPKiS7_PKS4_iiS9_lS5_PS4_l21rocsparse_index_base_b
    .private_segment_fixed_size: 0
    .sgpr_count:     40
    .sgpr_spill_count: 0
    .symbol:         _ZN9rocsparseL29gebsrmm_small_blockdim_kernelILi2ELi1ELi2ELi16EdEEv20rocsparse_direction_20rocsparse_operation_iiNS_24const_host_device_scalarIT3_EEPKiS7_PKS4_iiS9_lS5_PS4_l21rocsparse_index_base_b.kd
    .uniform_work_group_size: 1
    .uses_dynamic_stack: false
    .vgpr_count:     22
    .vgpr_spill_count: 0
    .wavefront_size: 64
  - .args:
      - .offset:         0
        .size:           4
        .value_kind:     by_value
      - .offset:         4
        .size:           4
        .value_kind:     by_value
      - .offset:         8
        .size:           4
        .value_kind:     by_value
      - .offset:         12
        .size:           4
        .value_kind:     by_value
      - .offset:         16
        .size:           8
        .value_kind:     by_value
      - .actual_access:  read_only
        .address_space:  global
        .offset:         24
        .size:           8
        .value_kind:     global_buffer
      - .actual_access:  read_only
        .address_space:  global
        .offset:         32
        .size:           8
        .value_kind:     global_buffer
      - .actual_access:  read_only
        .address_space:  global
        .offset:         40
        .size:           8
        .value_kind:     global_buffer
      - .offset:         48
        .size:           4
        .value_kind:     by_value
      - .offset:         52
        .size:           4
        .value_kind:     by_value
      - .actual_access:  read_only
        .address_space:  global
        .offset:         56
        .size:           8
        .value_kind:     global_buffer
      - .offset:         64
        .size:           8
        .value_kind:     by_value
      - .offset:         72
        .size:           8
        .value_kind:     by_value
      - .address_space:  global
        .offset:         80
        .size:           8
        .value_kind:     global_buffer
      - .offset:         88
        .size:           8
        .value_kind:     by_value
      - .offset:         96
        .size:           4
        .value_kind:     by_value
      - .offset:         100
        .size:           1
        .value_kind:     by_value
    .group_segment_fixed_size: 456
    .kernarg_segment_align: 8
    .kernarg_segment_size: 104
    .language:       OpenCL C
    .language_version:
      - 2
      - 0
    .max_flat_workgroup_size: 48
    .name:           _ZN9rocsparseL29gebsrmm_small_blockdim_kernelILi2ELi3ELi3ELi16EdEEv20rocsparse_direction_20rocsparse_operation_iiNS_24const_host_device_scalarIT3_EEPKiS7_PKS4_iiS9_lS5_PS4_l21rocsparse_index_base_b
    .private_segment_fixed_size: 0
    .sgpr_count:     40
    .sgpr_spill_count: 0
    .symbol:         _ZN9rocsparseL29gebsrmm_small_blockdim_kernelILi2ELi3ELi3ELi16EdEEv20rocsparse_direction_20rocsparse_operation_iiNS_24const_host_device_scalarIT3_EEPKiS7_PKS4_iiS9_lS5_PS4_l21rocsparse_index_base_b.kd
    .uniform_work_group_size: 1
    .uses_dynamic_stack: false
    .vgpr_count:     28
    .vgpr_spill_count: 0
    .wavefront_size: 64
  - .args:
      - .offset:         0
        .size:           4
        .value_kind:     by_value
      - .offset:         4
        .size:           4
        .value_kind:     by_value
      - .offset:         8
        .size:           4
        .value_kind:     by_value
      - .offset:         12
        .size:           4
        .value_kind:     by_value
      - .offset:         16
        .size:           8
        .value_kind:     by_value
      - .actual_access:  read_only
        .address_space:  global
        .offset:         24
        .size:           8
        .value_kind:     global_buffer
      - .actual_access:  read_only
        .address_space:  global
        .offset:         32
        .size:           8
        .value_kind:     global_buffer
      - .actual_access:  read_only
        .address_space:  global
        .offset:         40
        .size:           8
        .value_kind:     global_buffer
      - .offset:         48
        .size:           4
        .value_kind:     by_value
      - .offset:         52
        .size:           4
        .value_kind:     by_value
      - .actual_access:  read_only
        .address_space:  global
        .offset:         56
        .size:           8
        .value_kind:     global_buffer
      - .offset:         64
        .size:           8
        .value_kind:     by_value
      - .offset:         72
        .size:           8
        .value_kind:     by_value
      - .address_space:  global
        .offset:         80
        .size:           8
        .value_kind:     global_buffer
      - .offset:         88
        .size:           8
        .value_kind:     by_value
      - .offset:         96
        .size:           4
        .value_kind:     by_value
      - .offset:         100
        .size:           1
        .value_kind:     by_value
    .group_segment_fixed_size: 640
    .kernarg_segment_align: 8
    .kernarg_segment_size: 104
    .language:       OpenCL C
    .language_version:
      - 2
      - 0
    .max_flat_workgroup_size: 64
    .name:           _ZN9rocsparseL29gebsrmm_small_blockdim_kernelILi2ELi4ELi4ELi16EdEEv20rocsparse_direction_20rocsparse_operation_iiNS_24const_host_device_scalarIT3_EEPKiS7_PKS4_iiS9_lS5_PS4_l21rocsparse_index_base_b
    .private_segment_fixed_size: 0
    .sgpr_count:     40
    .sgpr_spill_count: 0
    .symbol:         _ZN9rocsparseL29gebsrmm_small_blockdim_kernelILi2ELi4ELi4ELi16EdEEv20rocsparse_direction_20rocsparse_operation_iiNS_24const_host_device_scalarIT3_EEPKiS7_PKS4_iiS9_lS5_PS4_l21rocsparse_index_base_b.kd
    .uniform_work_group_size: 1
    .uses_dynamic_stack: false
    .vgpr_count:     32
    .vgpr_spill_count: 0
    .wavefront_size: 64
  - .args:
      - .offset:         0
        .size:           4
        .value_kind:     by_value
      - .offset:         4
        .size:           4
        .value_kind:     by_value
      - .offset:         8
        .size:           4
        .value_kind:     by_value
      - .offset:         12
        .size:           4
        .value_kind:     by_value
      - .offset:         16
        .size:           8
        .value_kind:     by_value
      - .actual_access:  read_only
        .address_space:  global
        .offset:         24
        .size:           8
        .value_kind:     global_buffer
      - .actual_access:  read_only
        .address_space:  global
        .offset:         32
        .size:           8
        .value_kind:     global_buffer
      - .actual_access:  read_only
        .address_space:  global
        .offset:         40
        .size:           8
        .value_kind:     global_buffer
      - .offset:         48
        .size:           4
        .value_kind:     by_value
      - .offset:         52
        .size:           4
        .value_kind:     by_value
      - .actual_access:  read_only
        .address_space:  global
        .offset:         56
        .size:           8
        .value_kind:     global_buffer
      - .offset:         64
        .size:           8
        .value_kind:     by_value
      - .offset:         72
        .size:           8
        .value_kind:     by_value
      - .address_space:  global
        .offset:         80
        .size:           8
        .value_kind:     global_buffer
      - .offset:         88
        .size:           8
        .value_kind:     by_value
      - .offset:         96
        .size:           4
        .value_kind:     by_value
      - .offset:         100
        .size:           1
        .value_kind:     by_value
    .group_segment_fixed_size: 456
    .kernarg_segment_align: 8
    .kernarg_segment_size: 104
    .language:       OpenCL C
    .language_version:
      - 2
      - 0
    .max_flat_workgroup_size: 48
    .name:           _ZN9rocsparseL29gebsrmm_small_blockdim_kernelILi3ELi1ELi3ELi16EdEEv20rocsparse_direction_20rocsparse_operation_iiNS_24const_host_device_scalarIT3_EEPKiS7_PKS4_iiS9_lS5_PS4_l21rocsparse_index_base_b
    .private_segment_fixed_size: 0
    .sgpr_count:     40
    .sgpr_spill_count: 0
    .symbol:         _ZN9rocsparseL29gebsrmm_small_blockdim_kernelILi3ELi1ELi3ELi16EdEEv20rocsparse_direction_20rocsparse_operation_iiNS_24const_host_device_scalarIT3_EEPKiS7_PKS4_iiS9_lS5_PS4_l21rocsparse_index_base_b.kd
    .uniform_work_group_size: 1
    .uses_dynamic_stack: false
    .vgpr_count:     22
    .vgpr_spill_count: 0
    .wavefront_size: 64
  - .args:
      - .offset:         0
        .size:           4
        .value_kind:     by_value
      - .offset:         4
        .size:           4
        .value_kind:     by_value
      - .offset:         8
        .size:           4
        .value_kind:     by_value
      - .offset:         12
        .size:           4
        .value_kind:     by_value
      - .offset:         16
        .size:           8
        .value_kind:     by_value
      - .actual_access:  read_only
        .address_space:  global
        .offset:         24
        .size:           8
        .value_kind:     global_buffer
      - .actual_access:  read_only
        .address_space:  global
        .offset:         32
        .size:           8
        .value_kind:     global_buffer
      - .actual_access:  read_only
        .address_space:  global
        .offset:         40
        .size:           8
        .value_kind:     global_buffer
      - .offset:         48
        .size:           4
        .value_kind:     by_value
      - .offset:         52
        .size:           4
        .value_kind:     by_value
      - .actual_access:  read_only
        .address_space:  global
        .offset:         56
        .size:           8
        .value_kind:     global_buffer
      - .offset:         64
        .size:           8
        .value_kind:     by_value
      - .offset:         72
        .size:           8
        .value_kind:     by_value
      - .address_space:  global
        .offset:         80
        .size:           8
        .value_kind:     global_buffer
      - .offset:         88
        .size:           8
        .value_kind:     by_value
      - .offset:         96
        .size:           4
        .value_kind:     by_value
      - .offset:         100
        .size:           1
        .value_kind:     by_value
    .group_segment_fixed_size: 456
    .kernarg_segment_align: 8
    .kernarg_segment_size: 104
    .language:       OpenCL C
    .language_version:
      - 2
      - 0
    .max_flat_workgroup_size: 48
    .name:           _ZN9rocsparseL29gebsrmm_small_blockdim_kernelILi3ELi2ELi3ELi16EdEEv20rocsparse_direction_20rocsparse_operation_iiNS_24const_host_device_scalarIT3_EEPKiS7_PKS4_iiS9_lS5_PS4_l21rocsparse_index_base_b
    .private_segment_fixed_size: 0
    .sgpr_count:     40
    .sgpr_spill_count: 0
    .symbol:         _ZN9rocsparseL29gebsrmm_small_blockdim_kernelILi3ELi2ELi3ELi16EdEEv20rocsparse_direction_20rocsparse_operation_iiNS_24const_host_device_scalarIT3_EEPKiS7_PKS4_iiS9_lS5_PS4_l21rocsparse_index_base_b.kd
    .uniform_work_group_size: 1
    .uses_dynamic_stack: false
    .vgpr_count:     28
    .vgpr_spill_count: 0
    .wavefront_size: 64
  - .args:
      - .offset:         0
        .size:           4
        .value_kind:     by_value
      - .offset:         4
        .size:           4
        .value_kind:     by_value
      - .offset:         8
        .size:           4
        .value_kind:     by_value
      - .offset:         12
        .size:           4
        .value_kind:     by_value
      - .offset:         16
        .size:           8
        .value_kind:     by_value
      - .actual_access:  read_only
        .address_space:  global
        .offset:         24
        .size:           8
        .value_kind:     global_buffer
      - .actual_access:  read_only
        .address_space:  global
        .offset:         32
        .size:           8
        .value_kind:     global_buffer
      - .actual_access:  read_only
        .address_space:  global
        .offset:         40
        .size:           8
        .value_kind:     global_buffer
      - .offset:         48
        .size:           4
        .value_kind:     by_value
      - .offset:         52
        .size:           4
        .value_kind:     by_value
      - .actual_access:  read_only
        .address_space:  global
        .offset:         56
        .size:           8
        .value_kind:     global_buffer
      - .offset:         64
        .size:           8
        .value_kind:     by_value
      - .offset:         72
        .size:           8
        .value_kind:     by_value
      - .address_space:  global
        .offset:         80
        .size:           8
        .value_kind:     global_buffer
      - .offset:         88
        .size:           8
        .value_kind:     by_value
      - .offset:         96
        .size:           4
        .value_kind:     by_value
      - .offset:         100
        .size:           1
        .value_kind:     by_value
    .group_segment_fixed_size: 640
    .kernarg_segment_align: 8
    .kernarg_segment_size: 104
    .language:       OpenCL C
    .language_version:
      - 2
      - 0
    .max_flat_workgroup_size: 64
    .name:           _ZN9rocsparseL29gebsrmm_small_blockdim_kernelILi3ELi4ELi4ELi16EdEEv20rocsparse_direction_20rocsparse_operation_iiNS_24const_host_device_scalarIT3_EEPKiS7_PKS4_iiS9_lS5_PS4_l21rocsparse_index_base_b
    .private_segment_fixed_size: 0
    .sgpr_count:     40
    .sgpr_spill_count: 0
    .symbol:         _ZN9rocsparseL29gebsrmm_small_blockdim_kernelILi3ELi4ELi4ELi16EdEEv20rocsparse_direction_20rocsparse_operation_iiNS_24const_host_device_scalarIT3_EEPKiS7_PKS4_iiS9_lS5_PS4_l21rocsparse_index_base_b.kd
    .uniform_work_group_size: 1
    .uses_dynamic_stack: false
    .vgpr_count:     32
    .vgpr_spill_count: 0
    .wavefront_size: 64
  - .args:
      - .offset:         0
        .size:           4
        .value_kind:     by_value
      - .offset:         4
        .size:           4
        .value_kind:     by_value
      - .offset:         8
        .size:           4
        .value_kind:     by_value
      - .offset:         12
        .size:           4
        .value_kind:     by_value
      - .offset:         16
        .size:           8
        .value_kind:     by_value
      - .actual_access:  read_only
        .address_space:  global
        .offset:         24
        .size:           8
        .value_kind:     global_buffer
      - .actual_access:  read_only
        .address_space:  global
        .offset:         32
        .size:           8
        .value_kind:     global_buffer
      - .actual_access:  read_only
        .address_space:  global
        .offset:         40
        .size:           8
        .value_kind:     global_buffer
      - .offset:         48
        .size:           4
        .value_kind:     by_value
      - .offset:         52
        .size:           4
        .value_kind:     by_value
      - .actual_access:  read_only
        .address_space:  global
        .offset:         56
        .size:           8
        .value_kind:     global_buffer
      - .offset:         64
        .size:           8
        .value_kind:     by_value
      - .offset:         72
        .size:           8
        .value_kind:     by_value
      - .address_space:  global
        .offset:         80
        .size:           8
        .value_kind:     global_buffer
      - .offset:         88
        .size:           8
        .value_kind:     by_value
      - .offset:         96
        .size:           4
        .value_kind:     by_value
      - .offset:         100
        .size:           1
        .value_kind:     by_value
    .group_segment_fixed_size: 640
    .kernarg_segment_align: 8
    .kernarg_segment_size: 104
    .language:       OpenCL C
    .language_version:
      - 2
      - 0
    .max_flat_workgroup_size: 64
    .name:           _ZN9rocsparseL29gebsrmm_small_blockdim_kernelILi4ELi1ELi4ELi16EdEEv20rocsparse_direction_20rocsparse_operation_iiNS_24const_host_device_scalarIT3_EEPKiS7_PKS4_iiS9_lS5_PS4_l21rocsparse_index_base_b
    .private_segment_fixed_size: 0
    .sgpr_count:     40
    .sgpr_spill_count: 0
    .symbol:         _ZN9rocsparseL29gebsrmm_small_blockdim_kernelILi4ELi1ELi4ELi16EdEEv20rocsparse_direction_20rocsparse_operation_iiNS_24const_host_device_scalarIT3_EEPKiS7_PKS4_iiS9_lS5_PS4_l21rocsparse_index_base_b.kd
    .uniform_work_group_size: 1
    .uses_dynamic_stack: false
    .vgpr_count:     22
    .vgpr_spill_count: 0
    .wavefront_size: 64
  - .args:
      - .offset:         0
        .size:           4
        .value_kind:     by_value
      - .offset:         4
        .size:           4
        .value_kind:     by_value
      - .offset:         8
        .size:           4
        .value_kind:     by_value
      - .offset:         12
        .size:           4
        .value_kind:     by_value
      - .offset:         16
        .size:           8
        .value_kind:     by_value
      - .actual_access:  read_only
        .address_space:  global
        .offset:         24
        .size:           8
        .value_kind:     global_buffer
      - .actual_access:  read_only
        .address_space:  global
        .offset:         32
        .size:           8
        .value_kind:     global_buffer
      - .actual_access:  read_only
        .address_space:  global
        .offset:         40
        .size:           8
        .value_kind:     global_buffer
      - .offset:         48
        .size:           4
        .value_kind:     by_value
      - .offset:         52
        .size:           4
        .value_kind:     by_value
      - .actual_access:  read_only
        .address_space:  global
        .offset:         56
        .size:           8
        .value_kind:     global_buffer
      - .offset:         64
        .size:           8
        .value_kind:     by_value
      - .offset:         72
        .size:           8
        .value_kind:     by_value
      - .address_space:  global
        .offset:         80
        .size:           8
        .value_kind:     global_buffer
      - .offset:         88
        .size:           8
        .value_kind:     by_value
      - .offset:         96
        .size:           4
        .value_kind:     by_value
      - .offset:         100
        .size:           1
        .value_kind:     by_value
    .group_segment_fixed_size: 640
    .kernarg_segment_align: 8
    .kernarg_segment_size: 104
    .language:       OpenCL C
    .language_version:
      - 2
      - 0
    .max_flat_workgroup_size: 64
    .name:           _ZN9rocsparseL29gebsrmm_small_blockdim_kernelILi4ELi2ELi4ELi16EdEEv20rocsparse_direction_20rocsparse_operation_iiNS_24const_host_device_scalarIT3_EEPKiS7_PKS4_iiS9_lS5_PS4_l21rocsparse_index_base_b
    .private_segment_fixed_size: 0
    .sgpr_count:     40
    .sgpr_spill_count: 0
    .symbol:         _ZN9rocsparseL29gebsrmm_small_blockdim_kernelILi4ELi2ELi4ELi16EdEEv20rocsparse_direction_20rocsparse_operation_iiNS_24const_host_device_scalarIT3_EEPKiS7_PKS4_iiS9_lS5_PS4_l21rocsparse_index_base_b.kd
    .uniform_work_group_size: 1
    .uses_dynamic_stack: false
    .vgpr_count:     28
    .vgpr_spill_count: 0
    .wavefront_size: 64
  - .args:
      - .offset:         0
        .size:           4
        .value_kind:     by_value
      - .offset:         4
        .size:           4
        .value_kind:     by_value
      - .offset:         8
        .size:           4
        .value_kind:     by_value
      - .offset:         12
        .size:           4
        .value_kind:     by_value
      - .offset:         16
        .size:           8
        .value_kind:     by_value
      - .actual_access:  read_only
        .address_space:  global
        .offset:         24
        .size:           8
        .value_kind:     global_buffer
      - .actual_access:  read_only
        .address_space:  global
        .offset:         32
        .size:           8
        .value_kind:     global_buffer
      - .actual_access:  read_only
        .address_space:  global
        .offset:         40
        .size:           8
        .value_kind:     global_buffer
      - .offset:         48
        .size:           4
        .value_kind:     by_value
      - .offset:         52
        .size:           4
        .value_kind:     by_value
      - .actual_access:  read_only
        .address_space:  global
        .offset:         56
        .size:           8
        .value_kind:     global_buffer
      - .offset:         64
        .size:           8
        .value_kind:     by_value
      - .offset:         72
        .size:           8
        .value_kind:     by_value
      - .address_space:  global
        .offset:         80
        .size:           8
        .value_kind:     global_buffer
      - .offset:         88
        .size:           8
        .value_kind:     by_value
      - .offset:         96
        .size:           4
        .value_kind:     by_value
      - .offset:         100
        .size:           1
        .value_kind:     by_value
    .group_segment_fixed_size: 640
    .kernarg_segment_align: 8
    .kernarg_segment_size: 104
    .language:       OpenCL C
    .language_version:
      - 2
      - 0
    .max_flat_workgroup_size: 64
    .name:           _ZN9rocsparseL29gebsrmm_small_blockdim_kernelILi4ELi3ELi4ELi16EdEEv20rocsparse_direction_20rocsparse_operation_iiNS_24const_host_device_scalarIT3_EEPKiS7_PKS4_iiS9_lS5_PS4_l21rocsparse_index_base_b
    .private_segment_fixed_size: 0
    .sgpr_count:     40
    .sgpr_spill_count: 0
    .symbol:         _ZN9rocsparseL29gebsrmm_small_blockdim_kernelILi4ELi3ELi4ELi16EdEEv20rocsparse_direction_20rocsparse_operation_iiNS_24const_host_device_scalarIT3_EEPKiS7_PKS4_iiS9_lS5_PS4_l21rocsparse_index_base_b.kd
    .uniform_work_group_size: 1
    .uses_dynamic_stack: false
    .vgpr_count:     28
    .vgpr_spill_count: 0
    .wavefront_size: 64
  - .args:
      - .offset:         0
        .size:           4
        .value_kind:     by_value
      - .offset:         4
        .size:           4
        .value_kind:     by_value
      - .offset:         8
        .size:           4
        .value_kind:     by_value
      - .offset:         12
        .size:           4
        .value_kind:     by_value
      - .offset:         16
        .size:           8
        .value_kind:     by_value
      - .actual_access:  read_only
        .address_space:  global
        .offset:         24
        .size:           8
        .value_kind:     global_buffer
      - .actual_access:  read_only
        .address_space:  global
        .offset:         32
        .size:           8
        .value_kind:     global_buffer
      - .actual_access:  read_only
        .address_space:  global
        .offset:         40
        .size:           8
        .value_kind:     global_buffer
      - .offset:         48
        .size:           4
        .value_kind:     by_value
      - .offset:         52
        .size:           4
        .value_kind:     by_value
      - .actual_access:  read_only
        .address_space:  global
        .offset:         56
        .size:           8
        .value_kind:     global_buffer
      - .offset:         64
        .size:           8
        .value_kind:     by_value
      - .offset:         72
        .size:           8
        .value_kind:     by_value
      - .address_space:  global
        .offset:         80
        .size:           8
        .value_kind:     global_buffer
      - .offset:         88
        .size:           8
        .value_kind:     by_value
      - .offset:         96
        .size:           4
        .value_kind:     by_value
      - .offset:         100
        .size:           1
        .value_kind:     by_value
    .group_segment_fixed_size: 288
    .kernarg_segment_align: 8
    .kernarg_segment_size: 104
    .language:       OpenCL C
    .language_version:
      - 2
      - 0
    .max_flat_workgroup_size: 32
    .name:           _ZN9rocsparseL29gebsrmm_small_blockdim_kernelILi1ELi2ELi2ELi16E21rocsparse_complex_numIfEEEv20rocsparse_direction_20rocsparse_operation_iiNS_24const_host_device_scalarIT3_EEPKiS9_PKS6_iiSB_lS7_PS6_l21rocsparse_index_base_b
    .private_segment_fixed_size: 0
    .sgpr_count:     40
    .sgpr_spill_count: 0
    .symbol:         _ZN9rocsparseL29gebsrmm_small_blockdim_kernelILi1ELi2ELi2ELi16E21rocsparse_complex_numIfEEEv20rocsparse_direction_20rocsparse_operation_iiNS_24const_host_device_scalarIT3_EEPKiS9_PKS6_iiSB_lS7_PS6_l21rocsparse_index_base_b.kd
    .uniform_work_group_size: 1
    .uses_dynamic_stack: false
    .vgpr_count:     30
    .vgpr_spill_count: 0
    .wavefront_size: 64
  - .args:
      - .offset:         0
        .size:           4
        .value_kind:     by_value
      - .offset:         4
        .size:           4
        .value_kind:     by_value
      - .offset:         8
        .size:           4
        .value_kind:     by_value
      - .offset:         12
        .size:           4
        .value_kind:     by_value
      - .offset:         16
        .size:           8
        .value_kind:     by_value
      - .actual_access:  read_only
        .address_space:  global
        .offset:         24
        .size:           8
        .value_kind:     global_buffer
      - .actual_access:  read_only
        .address_space:  global
        .offset:         32
        .size:           8
        .value_kind:     global_buffer
      - .actual_access:  read_only
        .address_space:  global
        .offset:         40
        .size:           8
        .value_kind:     global_buffer
      - .offset:         48
        .size:           4
        .value_kind:     by_value
      - .offset:         52
        .size:           4
        .value_kind:     by_value
      - .actual_access:  read_only
        .address_space:  global
        .offset:         56
        .size:           8
        .value_kind:     global_buffer
      - .offset:         64
        .size:           8
        .value_kind:     by_value
      - .offset:         72
        .size:           8
        .value_kind:     by_value
      - .address_space:  global
        .offset:         80
        .size:           8
        .value_kind:     global_buffer
      - .offset:         88
        .size:           8
        .value_kind:     by_value
      - .offset:         96
        .size:           4
        .value_kind:     by_value
      - .offset:         100
        .size:           1
        .value_kind:     by_value
    .group_segment_fixed_size: 456
    .kernarg_segment_align: 8
    .kernarg_segment_size: 104
    .language:       OpenCL C
    .language_version:
      - 2
      - 0
    .max_flat_workgroup_size: 48
    .name:           _ZN9rocsparseL29gebsrmm_small_blockdim_kernelILi1ELi3ELi3ELi16E21rocsparse_complex_numIfEEEv20rocsparse_direction_20rocsparse_operation_iiNS_24const_host_device_scalarIT3_EEPKiS9_PKS6_iiSB_lS7_PS6_l21rocsparse_index_base_b
    .private_segment_fixed_size: 0
    .sgpr_count:     40
    .sgpr_spill_count: 0
    .symbol:         _ZN9rocsparseL29gebsrmm_small_blockdim_kernelILi1ELi3ELi3ELi16E21rocsparse_complex_numIfEEEv20rocsparse_direction_20rocsparse_operation_iiNS_24const_host_device_scalarIT3_EEPKiS9_PKS6_iiSB_lS7_PS6_l21rocsparse_index_base_b.kd
    .uniform_work_group_size: 1
    .uses_dynamic_stack: false
    .vgpr_count:     32
    .vgpr_spill_count: 0
    .wavefront_size: 64
  - .args:
      - .offset:         0
        .size:           4
        .value_kind:     by_value
      - .offset:         4
        .size:           4
        .value_kind:     by_value
      - .offset:         8
        .size:           4
        .value_kind:     by_value
      - .offset:         12
        .size:           4
        .value_kind:     by_value
      - .offset:         16
        .size:           8
        .value_kind:     by_value
      - .actual_access:  read_only
        .address_space:  global
        .offset:         24
        .size:           8
        .value_kind:     global_buffer
      - .actual_access:  read_only
        .address_space:  global
        .offset:         32
        .size:           8
        .value_kind:     global_buffer
      - .actual_access:  read_only
        .address_space:  global
        .offset:         40
        .size:           8
        .value_kind:     global_buffer
      - .offset:         48
        .size:           4
        .value_kind:     by_value
      - .offset:         52
        .size:           4
        .value_kind:     by_value
      - .actual_access:  read_only
        .address_space:  global
        .offset:         56
        .size:           8
        .value_kind:     global_buffer
      - .offset:         64
        .size:           8
        .value_kind:     by_value
      - .offset:         72
        .size:           8
        .value_kind:     by_value
      - .address_space:  global
        .offset:         80
        .size:           8
        .value_kind:     global_buffer
      - .offset:         88
        .size:           8
        .value_kind:     by_value
      - .offset:         96
        .size:           4
        .value_kind:     by_value
      - .offset:         100
        .size:           1
        .value_kind:     by_value
    .group_segment_fixed_size: 640
    .kernarg_segment_align: 8
    .kernarg_segment_size: 104
    .language:       OpenCL C
    .language_version:
      - 2
      - 0
    .max_flat_workgroup_size: 64
    .name:           _ZN9rocsparseL29gebsrmm_small_blockdim_kernelILi1ELi4ELi4ELi16E21rocsparse_complex_numIfEEEv20rocsparse_direction_20rocsparse_operation_iiNS_24const_host_device_scalarIT3_EEPKiS9_PKS6_iiSB_lS7_PS6_l21rocsparse_index_base_b
    .private_segment_fixed_size: 0
    .sgpr_count:     40
    .sgpr_spill_count: 0
    .symbol:         _ZN9rocsparseL29gebsrmm_small_blockdim_kernelILi1ELi4ELi4ELi16E21rocsparse_complex_numIfEEEv20rocsparse_direction_20rocsparse_operation_iiNS_24const_host_device_scalarIT3_EEPKiS9_PKS6_iiSB_lS7_PS6_l21rocsparse_index_base_b.kd
    .uniform_work_group_size: 1
    .uses_dynamic_stack: false
    .vgpr_count:     38
    .vgpr_spill_count: 0
    .wavefront_size: 64
  - .args:
      - .offset:         0
        .size:           4
        .value_kind:     by_value
      - .offset:         4
        .size:           4
        .value_kind:     by_value
      - .offset:         8
        .size:           4
        .value_kind:     by_value
      - .offset:         12
        .size:           4
        .value_kind:     by_value
      - .offset:         16
        .size:           8
        .value_kind:     by_value
      - .actual_access:  read_only
        .address_space:  global
        .offset:         24
        .size:           8
        .value_kind:     global_buffer
      - .actual_access:  read_only
        .address_space:  global
        .offset:         32
        .size:           8
        .value_kind:     global_buffer
      - .actual_access:  read_only
        .address_space:  global
        .offset:         40
        .size:           8
        .value_kind:     global_buffer
      - .offset:         48
        .size:           4
        .value_kind:     by_value
      - .offset:         52
        .size:           4
        .value_kind:     by_value
      - .actual_access:  read_only
        .address_space:  global
        .offset:         56
        .size:           8
        .value_kind:     global_buffer
      - .offset:         64
        .size:           8
        .value_kind:     by_value
      - .offset:         72
        .size:           8
        .value_kind:     by_value
      - .address_space:  global
        .offset:         80
        .size:           8
        .value_kind:     global_buffer
      - .offset:         88
        .size:           8
        .value_kind:     by_value
      - .offset:         96
        .size:           4
        .value_kind:     by_value
      - .offset:         100
        .size:           1
        .value_kind:     by_value
    .group_segment_fixed_size: 288
    .kernarg_segment_align: 8
    .kernarg_segment_size: 104
    .language:       OpenCL C
    .language_version:
      - 2
      - 0
    .max_flat_workgroup_size: 32
    .name:           _ZN9rocsparseL29gebsrmm_small_blockdim_kernelILi2ELi1ELi2ELi16E21rocsparse_complex_numIfEEEv20rocsparse_direction_20rocsparse_operation_iiNS_24const_host_device_scalarIT3_EEPKiS9_PKS6_iiSB_lS7_PS6_l21rocsparse_index_base_b
    .private_segment_fixed_size: 0
    .sgpr_count:     40
    .sgpr_spill_count: 0
    .symbol:         _ZN9rocsparseL29gebsrmm_small_blockdim_kernelILi2ELi1ELi2ELi16E21rocsparse_complex_numIfEEEv20rocsparse_direction_20rocsparse_operation_iiNS_24const_host_device_scalarIT3_EEPKiS9_PKS6_iiSB_lS7_PS6_l21rocsparse_index_base_b.kd
    .uniform_work_group_size: 1
    .uses_dynamic_stack: false
    .vgpr_count:     25
    .vgpr_spill_count: 0
    .wavefront_size: 64
  - .args:
      - .offset:         0
        .size:           4
        .value_kind:     by_value
      - .offset:         4
        .size:           4
        .value_kind:     by_value
      - .offset:         8
        .size:           4
        .value_kind:     by_value
      - .offset:         12
        .size:           4
        .value_kind:     by_value
      - .offset:         16
        .size:           8
        .value_kind:     by_value
      - .actual_access:  read_only
        .address_space:  global
        .offset:         24
        .size:           8
        .value_kind:     global_buffer
      - .actual_access:  read_only
        .address_space:  global
        .offset:         32
        .size:           8
        .value_kind:     global_buffer
      - .actual_access:  read_only
        .address_space:  global
        .offset:         40
        .size:           8
        .value_kind:     global_buffer
      - .offset:         48
        .size:           4
        .value_kind:     by_value
      - .offset:         52
        .size:           4
        .value_kind:     by_value
      - .actual_access:  read_only
        .address_space:  global
        .offset:         56
        .size:           8
        .value_kind:     global_buffer
      - .offset:         64
        .size:           8
        .value_kind:     by_value
      - .offset:         72
        .size:           8
        .value_kind:     by_value
      - .address_space:  global
        .offset:         80
        .size:           8
        .value_kind:     global_buffer
      - .offset:         88
        .size:           8
        .value_kind:     by_value
      - .offset:         96
        .size:           4
        .value_kind:     by_value
      - .offset:         100
        .size:           1
        .value_kind:     by_value
    .group_segment_fixed_size: 456
    .kernarg_segment_align: 8
    .kernarg_segment_size: 104
    .language:       OpenCL C
    .language_version:
      - 2
      - 0
    .max_flat_workgroup_size: 48
    .name:           _ZN9rocsparseL29gebsrmm_small_blockdim_kernelILi2ELi3ELi3ELi16E21rocsparse_complex_numIfEEEv20rocsparse_direction_20rocsparse_operation_iiNS_24const_host_device_scalarIT3_EEPKiS9_PKS6_iiSB_lS7_PS6_l21rocsparse_index_base_b
    .private_segment_fixed_size: 0
    .sgpr_count:     40
    .sgpr_spill_count: 0
    .symbol:         _ZN9rocsparseL29gebsrmm_small_blockdim_kernelILi2ELi3ELi3ELi16E21rocsparse_complex_numIfEEEv20rocsparse_direction_20rocsparse_operation_iiNS_24const_host_device_scalarIT3_EEPKiS9_PKS6_iiSB_lS7_PS6_l21rocsparse_index_base_b.kd
    .uniform_work_group_size: 1
    .uses_dynamic_stack: false
    .vgpr_count:     31
    .vgpr_spill_count: 0
    .wavefront_size: 64
  - .args:
      - .offset:         0
        .size:           4
        .value_kind:     by_value
      - .offset:         4
        .size:           4
        .value_kind:     by_value
      - .offset:         8
        .size:           4
        .value_kind:     by_value
      - .offset:         12
        .size:           4
        .value_kind:     by_value
      - .offset:         16
        .size:           8
        .value_kind:     by_value
      - .actual_access:  read_only
        .address_space:  global
        .offset:         24
        .size:           8
        .value_kind:     global_buffer
      - .actual_access:  read_only
        .address_space:  global
        .offset:         32
        .size:           8
        .value_kind:     global_buffer
      - .actual_access:  read_only
        .address_space:  global
        .offset:         40
        .size:           8
        .value_kind:     global_buffer
      - .offset:         48
        .size:           4
        .value_kind:     by_value
      - .offset:         52
        .size:           4
        .value_kind:     by_value
      - .actual_access:  read_only
        .address_space:  global
        .offset:         56
        .size:           8
        .value_kind:     global_buffer
      - .offset:         64
        .size:           8
        .value_kind:     by_value
      - .offset:         72
        .size:           8
        .value_kind:     by_value
      - .address_space:  global
        .offset:         80
        .size:           8
        .value_kind:     global_buffer
      - .offset:         88
        .size:           8
        .value_kind:     by_value
      - .offset:         96
        .size:           4
        .value_kind:     by_value
      - .offset:         100
        .size:           1
        .value_kind:     by_value
    .group_segment_fixed_size: 640
    .kernarg_segment_align: 8
    .kernarg_segment_size: 104
    .language:       OpenCL C
    .language_version:
      - 2
      - 0
    .max_flat_workgroup_size: 64
    .name:           _ZN9rocsparseL29gebsrmm_small_blockdim_kernelILi2ELi4ELi4ELi16E21rocsparse_complex_numIfEEEv20rocsparse_direction_20rocsparse_operation_iiNS_24const_host_device_scalarIT3_EEPKiS9_PKS6_iiSB_lS7_PS6_l21rocsparse_index_base_b
    .private_segment_fixed_size: 0
    .sgpr_count:     40
    .sgpr_spill_count: 0
    .symbol:         _ZN9rocsparseL29gebsrmm_small_blockdim_kernelILi2ELi4ELi4ELi16E21rocsparse_complex_numIfEEEv20rocsparse_direction_20rocsparse_operation_iiNS_24const_host_device_scalarIT3_EEPKiS9_PKS6_iiSB_lS7_PS6_l21rocsparse_index_base_b.kd
    .uniform_work_group_size: 1
    .uses_dynamic_stack: false
    .vgpr_count:     37
    .vgpr_spill_count: 0
    .wavefront_size: 64
  - .args:
      - .offset:         0
        .size:           4
        .value_kind:     by_value
      - .offset:         4
        .size:           4
        .value_kind:     by_value
      - .offset:         8
        .size:           4
        .value_kind:     by_value
      - .offset:         12
        .size:           4
        .value_kind:     by_value
      - .offset:         16
        .size:           8
        .value_kind:     by_value
      - .actual_access:  read_only
        .address_space:  global
        .offset:         24
        .size:           8
        .value_kind:     global_buffer
      - .actual_access:  read_only
        .address_space:  global
        .offset:         32
        .size:           8
        .value_kind:     global_buffer
      - .actual_access:  read_only
        .address_space:  global
        .offset:         40
        .size:           8
        .value_kind:     global_buffer
      - .offset:         48
        .size:           4
        .value_kind:     by_value
      - .offset:         52
        .size:           4
        .value_kind:     by_value
      - .actual_access:  read_only
        .address_space:  global
        .offset:         56
        .size:           8
        .value_kind:     global_buffer
      - .offset:         64
        .size:           8
        .value_kind:     by_value
      - .offset:         72
        .size:           8
        .value_kind:     by_value
      - .address_space:  global
        .offset:         80
        .size:           8
        .value_kind:     global_buffer
      - .offset:         88
        .size:           8
        .value_kind:     by_value
      - .offset:         96
        .size:           4
        .value_kind:     by_value
      - .offset:         100
        .size:           1
        .value_kind:     by_value
    .group_segment_fixed_size: 456
    .kernarg_segment_align: 8
    .kernarg_segment_size: 104
    .language:       OpenCL C
    .language_version:
      - 2
      - 0
    .max_flat_workgroup_size: 48
    .name:           _ZN9rocsparseL29gebsrmm_small_blockdim_kernelILi3ELi1ELi3ELi16E21rocsparse_complex_numIfEEEv20rocsparse_direction_20rocsparse_operation_iiNS_24const_host_device_scalarIT3_EEPKiS9_PKS6_iiSB_lS7_PS6_l21rocsparse_index_base_b
    .private_segment_fixed_size: 0
    .sgpr_count:     40
    .sgpr_spill_count: 0
    .symbol:         _ZN9rocsparseL29gebsrmm_small_blockdim_kernelILi3ELi1ELi3ELi16E21rocsparse_complex_numIfEEEv20rocsparse_direction_20rocsparse_operation_iiNS_24const_host_device_scalarIT3_EEPKiS9_PKS6_iiSB_lS7_PS6_l21rocsparse_index_base_b.kd
    .uniform_work_group_size: 1
    .uses_dynamic_stack: false
    .vgpr_count:     25
    .vgpr_spill_count: 0
    .wavefront_size: 64
  - .args:
      - .offset:         0
        .size:           4
        .value_kind:     by_value
      - .offset:         4
        .size:           4
        .value_kind:     by_value
      - .offset:         8
        .size:           4
        .value_kind:     by_value
      - .offset:         12
        .size:           4
        .value_kind:     by_value
      - .offset:         16
        .size:           8
        .value_kind:     by_value
      - .actual_access:  read_only
        .address_space:  global
        .offset:         24
        .size:           8
        .value_kind:     global_buffer
      - .actual_access:  read_only
        .address_space:  global
        .offset:         32
        .size:           8
        .value_kind:     global_buffer
      - .actual_access:  read_only
        .address_space:  global
        .offset:         40
        .size:           8
        .value_kind:     global_buffer
      - .offset:         48
        .size:           4
        .value_kind:     by_value
      - .offset:         52
        .size:           4
        .value_kind:     by_value
      - .actual_access:  read_only
        .address_space:  global
        .offset:         56
        .size:           8
        .value_kind:     global_buffer
      - .offset:         64
        .size:           8
        .value_kind:     by_value
      - .offset:         72
        .size:           8
        .value_kind:     by_value
      - .address_space:  global
        .offset:         80
        .size:           8
        .value_kind:     global_buffer
      - .offset:         88
        .size:           8
        .value_kind:     by_value
      - .offset:         96
        .size:           4
        .value_kind:     by_value
      - .offset:         100
        .size:           1
        .value_kind:     by_value
    .group_segment_fixed_size: 456
    .kernarg_segment_align: 8
    .kernarg_segment_size: 104
    .language:       OpenCL C
    .language_version:
      - 2
      - 0
    .max_flat_workgroup_size: 48
    .name:           _ZN9rocsparseL29gebsrmm_small_blockdim_kernelILi3ELi2ELi3ELi16E21rocsparse_complex_numIfEEEv20rocsparse_direction_20rocsparse_operation_iiNS_24const_host_device_scalarIT3_EEPKiS9_PKS6_iiSB_lS7_PS6_l21rocsparse_index_base_b
    .private_segment_fixed_size: 0
    .sgpr_count:     40
    .sgpr_spill_count: 0
    .symbol:         _ZN9rocsparseL29gebsrmm_small_blockdim_kernelILi3ELi2ELi3ELi16E21rocsparse_complex_numIfEEEv20rocsparse_direction_20rocsparse_operation_iiNS_24const_host_device_scalarIT3_EEPKiS9_PKS6_iiSB_lS7_PS6_l21rocsparse_index_base_b.kd
    .uniform_work_group_size: 1
    .uses_dynamic_stack: false
    .vgpr_count:     29
    .vgpr_spill_count: 0
    .wavefront_size: 64
  - .args:
      - .offset:         0
        .size:           4
        .value_kind:     by_value
      - .offset:         4
        .size:           4
        .value_kind:     by_value
      - .offset:         8
        .size:           4
        .value_kind:     by_value
      - .offset:         12
        .size:           4
        .value_kind:     by_value
      - .offset:         16
        .size:           8
        .value_kind:     by_value
      - .actual_access:  read_only
        .address_space:  global
        .offset:         24
        .size:           8
        .value_kind:     global_buffer
      - .actual_access:  read_only
        .address_space:  global
        .offset:         32
        .size:           8
        .value_kind:     global_buffer
      - .actual_access:  read_only
        .address_space:  global
        .offset:         40
        .size:           8
        .value_kind:     global_buffer
      - .offset:         48
        .size:           4
        .value_kind:     by_value
      - .offset:         52
        .size:           4
        .value_kind:     by_value
      - .actual_access:  read_only
        .address_space:  global
        .offset:         56
        .size:           8
        .value_kind:     global_buffer
      - .offset:         64
        .size:           8
        .value_kind:     by_value
      - .offset:         72
        .size:           8
        .value_kind:     by_value
      - .address_space:  global
        .offset:         80
        .size:           8
        .value_kind:     global_buffer
      - .offset:         88
        .size:           8
        .value_kind:     by_value
      - .offset:         96
        .size:           4
        .value_kind:     by_value
      - .offset:         100
        .size:           1
        .value_kind:     by_value
    .group_segment_fixed_size: 640
    .kernarg_segment_align: 8
    .kernarg_segment_size: 104
    .language:       OpenCL C
    .language_version:
      - 2
      - 0
    .max_flat_workgroup_size: 64
    .name:           _ZN9rocsparseL29gebsrmm_small_blockdim_kernelILi3ELi4ELi4ELi16E21rocsparse_complex_numIfEEEv20rocsparse_direction_20rocsparse_operation_iiNS_24const_host_device_scalarIT3_EEPKiS9_PKS6_iiSB_lS7_PS6_l21rocsparse_index_base_b
    .private_segment_fixed_size: 0
    .sgpr_count:     40
    .sgpr_spill_count: 0
    .symbol:         _ZN9rocsparseL29gebsrmm_small_blockdim_kernelILi3ELi4ELi4ELi16E21rocsparse_complex_numIfEEEv20rocsparse_direction_20rocsparse_operation_iiNS_24const_host_device_scalarIT3_EEPKiS9_PKS6_iiSB_lS7_PS6_l21rocsparse_index_base_b.kd
    .uniform_work_group_size: 1
    .uses_dynamic_stack: false
    .vgpr_count:     37
    .vgpr_spill_count: 0
    .wavefront_size: 64
  - .args:
      - .offset:         0
        .size:           4
        .value_kind:     by_value
      - .offset:         4
        .size:           4
        .value_kind:     by_value
      - .offset:         8
        .size:           4
        .value_kind:     by_value
      - .offset:         12
        .size:           4
        .value_kind:     by_value
      - .offset:         16
        .size:           8
        .value_kind:     by_value
      - .actual_access:  read_only
        .address_space:  global
        .offset:         24
        .size:           8
        .value_kind:     global_buffer
      - .actual_access:  read_only
        .address_space:  global
        .offset:         32
        .size:           8
        .value_kind:     global_buffer
      - .actual_access:  read_only
        .address_space:  global
        .offset:         40
        .size:           8
        .value_kind:     global_buffer
      - .offset:         48
        .size:           4
        .value_kind:     by_value
      - .offset:         52
        .size:           4
        .value_kind:     by_value
      - .actual_access:  read_only
        .address_space:  global
        .offset:         56
        .size:           8
        .value_kind:     global_buffer
      - .offset:         64
        .size:           8
        .value_kind:     by_value
      - .offset:         72
        .size:           8
        .value_kind:     by_value
      - .address_space:  global
        .offset:         80
        .size:           8
        .value_kind:     global_buffer
      - .offset:         88
        .size:           8
        .value_kind:     by_value
      - .offset:         96
        .size:           4
        .value_kind:     by_value
      - .offset:         100
        .size:           1
        .value_kind:     by_value
    .group_segment_fixed_size: 640
    .kernarg_segment_align: 8
    .kernarg_segment_size: 104
    .language:       OpenCL C
    .language_version:
      - 2
      - 0
    .max_flat_workgroup_size: 64
    .name:           _ZN9rocsparseL29gebsrmm_small_blockdim_kernelILi4ELi1ELi4ELi16E21rocsparse_complex_numIfEEEv20rocsparse_direction_20rocsparse_operation_iiNS_24const_host_device_scalarIT3_EEPKiS9_PKS6_iiSB_lS7_PS6_l21rocsparse_index_base_b
    .private_segment_fixed_size: 0
    .sgpr_count:     40
    .sgpr_spill_count: 0
    .symbol:         _ZN9rocsparseL29gebsrmm_small_blockdim_kernelILi4ELi1ELi4ELi16E21rocsparse_complex_numIfEEEv20rocsparse_direction_20rocsparse_operation_iiNS_24const_host_device_scalarIT3_EEPKiS9_PKS6_iiSB_lS7_PS6_l21rocsparse_index_base_b.kd
    .uniform_work_group_size: 1
    .uses_dynamic_stack: false
    .vgpr_count:     25
    .vgpr_spill_count: 0
    .wavefront_size: 64
  - .args:
      - .offset:         0
        .size:           4
        .value_kind:     by_value
      - .offset:         4
        .size:           4
        .value_kind:     by_value
      - .offset:         8
        .size:           4
        .value_kind:     by_value
      - .offset:         12
        .size:           4
        .value_kind:     by_value
      - .offset:         16
        .size:           8
        .value_kind:     by_value
      - .actual_access:  read_only
        .address_space:  global
        .offset:         24
        .size:           8
        .value_kind:     global_buffer
      - .actual_access:  read_only
        .address_space:  global
        .offset:         32
        .size:           8
        .value_kind:     global_buffer
      - .actual_access:  read_only
        .address_space:  global
        .offset:         40
        .size:           8
        .value_kind:     global_buffer
      - .offset:         48
        .size:           4
        .value_kind:     by_value
      - .offset:         52
        .size:           4
        .value_kind:     by_value
      - .actual_access:  read_only
        .address_space:  global
        .offset:         56
        .size:           8
        .value_kind:     global_buffer
      - .offset:         64
        .size:           8
        .value_kind:     by_value
      - .offset:         72
        .size:           8
        .value_kind:     by_value
      - .address_space:  global
        .offset:         80
        .size:           8
        .value_kind:     global_buffer
      - .offset:         88
        .size:           8
        .value_kind:     by_value
      - .offset:         96
        .size:           4
        .value_kind:     by_value
      - .offset:         100
        .size:           1
        .value_kind:     by_value
    .group_segment_fixed_size: 640
    .kernarg_segment_align: 8
    .kernarg_segment_size: 104
    .language:       OpenCL C
    .language_version:
      - 2
      - 0
    .max_flat_workgroup_size: 64
    .name:           _ZN9rocsparseL29gebsrmm_small_blockdim_kernelILi4ELi2ELi4ELi16E21rocsparse_complex_numIfEEEv20rocsparse_direction_20rocsparse_operation_iiNS_24const_host_device_scalarIT3_EEPKiS9_PKS6_iiSB_lS7_PS6_l21rocsparse_index_base_b
    .private_segment_fixed_size: 0
    .sgpr_count:     40
    .sgpr_spill_count: 0
    .symbol:         _ZN9rocsparseL29gebsrmm_small_blockdim_kernelILi4ELi2ELi4ELi16E21rocsparse_complex_numIfEEEv20rocsparse_direction_20rocsparse_operation_iiNS_24const_host_device_scalarIT3_EEPKiS9_PKS6_iiSB_lS7_PS6_l21rocsparse_index_base_b.kd
    .uniform_work_group_size: 1
    .uses_dynamic_stack: false
    .vgpr_count:     29
    .vgpr_spill_count: 0
    .wavefront_size: 64
  - .args:
      - .offset:         0
        .size:           4
        .value_kind:     by_value
      - .offset:         4
        .size:           4
        .value_kind:     by_value
      - .offset:         8
        .size:           4
        .value_kind:     by_value
      - .offset:         12
        .size:           4
        .value_kind:     by_value
      - .offset:         16
        .size:           8
        .value_kind:     by_value
      - .actual_access:  read_only
        .address_space:  global
        .offset:         24
        .size:           8
        .value_kind:     global_buffer
      - .actual_access:  read_only
        .address_space:  global
        .offset:         32
        .size:           8
        .value_kind:     global_buffer
      - .actual_access:  read_only
        .address_space:  global
        .offset:         40
        .size:           8
        .value_kind:     global_buffer
      - .offset:         48
        .size:           4
        .value_kind:     by_value
      - .offset:         52
        .size:           4
        .value_kind:     by_value
      - .actual_access:  read_only
        .address_space:  global
        .offset:         56
        .size:           8
        .value_kind:     global_buffer
      - .offset:         64
        .size:           8
        .value_kind:     by_value
      - .offset:         72
        .size:           8
        .value_kind:     by_value
      - .address_space:  global
        .offset:         80
        .size:           8
        .value_kind:     global_buffer
      - .offset:         88
        .size:           8
        .value_kind:     by_value
      - .offset:         96
        .size:           4
        .value_kind:     by_value
      - .offset:         100
        .size:           1
        .value_kind:     by_value
    .group_segment_fixed_size: 640
    .kernarg_segment_align: 8
    .kernarg_segment_size: 104
    .language:       OpenCL C
    .language_version:
      - 2
      - 0
    .max_flat_workgroup_size: 64
    .name:           _ZN9rocsparseL29gebsrmm_small_blockdim_kernelILi4ELi3ELi4ELi16E21rocsparse_complex_numIfEEEv20rocsparse_direction_20rocsparse_operation_iiNS_24const_host_device_scalarIT3_EEPKiS9_PKS6_iiSB_lS7_PS6_l21rocsparse_index_base_b
    .private_segment_fixed_size: 0
    .sgpr_count:     40
    .sgpr_spill_count: 0
    .symbol:         _ZN9rocsparseL29gebsrmm_small_blockdim_kernelILi4ELi3ELi4ELi16E21rocsparse_complex_numIfEEEv20rocsparse_direction_20rocsparse_operation_iiNS_24const_host_device_scalarIT3_EEPKiS9_PKS6_iiSB_lS7_PS6_l21rocsparse_index_base_b.kd
    .uniform_work_group_size: 1
    .uses_dynamic_stack: false
    .vgpr_count:     33
    .vgpr_spill_count: 0
    .wavefront_size: 64
  - .args:
      - .offset:         0
        .size:           4
        .value_kind:     by_value
      - .offset:         4
        .size:           4
        .value_kind:     by_value
      - .offset:         8
        .size:           4
        .value_kind:     by_value
      - .offset:         12
        .size:           4
        .value_kind:     by_value
      - .offset:         16
        .size:           16
        .value_kind:     by_value
      - .actual_access:  read_only
        .address_space:  global
        .offset:         32
        .size:           8
        .value_kind:     global_buffer
      - .actual_access:  read_only
        .address_space:  global
        .offset:         40
        .size:           8
        .value_kind:     global_buffer
      - .actual_access:  read_only
        .address_space:  global
        .offset:         48
        .size:           8
        .value_kind:     global_buffer
      - .offset:         56
        .size:           4
        .value_kind:     by_value
      - .offset:         60
        .size:           4
        .value_kind:     by_value
      - .actual_access:  read_only
        .address_space:  global
        .offset:         64
        .size:           8
        .value_kind:     global_buffer
      - .offset:         72
        .size:           8
        .value_kind:     by_value
      - .offset:         80
        .size:           16
        .value_kind:     by_value
      - .address_space:  global
        .offset:         96
        .size:           8
        .value_kind:     global_buffer
      - .offset:         104
        .size:           8
        .value_kind:     by_value
      - .offset:         112
        .size:           4
        .value_kind:     by_value
      - .offset:         116
        .size:           1
        .value_kind:     by_value
    .group_segment_fixed_size: 576
    .kernarg_segment_align: 8
    .kernarg_segment_size: 120
    .language:       OpenCL C
    .language_version:
      - 2
      - 0
    .max_flat_workgroup_size: 32
    .name:           _ZN9rocsparseL29gebsrmm_small_blockdim_kernelILi1ELi2ELi2ELi16E21rocsparse_complex_numIdEEEv20rocsparse_direction_20rocsparse_operation_iiNS_24const_host_device_scalarIT3_EEPKiS9_PKS6_iiSB_lS7_PS6_l21rocsparse_index_base_b
    .private_segment_fixed_size: 0
    .sgpr_count:     40
    .sgpr_spill_count: 0
    .symbol:         _ZN9rocsparseL29gebsrmm_small_blockdim_kernelILi1ELi2ELi2ELi16E21rocsparse_complex_numIdEEEv20rocsparse_direction_20rocsparse_operation_iiNS_24const_host_device_scalarIT3_EEPKiS9_PKS6_iiSB_lS7_PS6_l21rocsparse_index_base_b.kd
    .uniform_work_group_size: 1
    .uses_dynamic_stack: false
    .vgpr_count:     38
    .vgpr_spill_count: 0
    .wavefront_size: 64
  - .args:
      - .offset:         0
        .size:           4
        .value_kind:     by_value
      - .offset:         4
        .size:           4
        .value_kind:     by_value
      - .offset:         8
        .size:           4
        .value_kind:     by_value
      - .offset:         12
        .size:           4
        .value_kind:     by_value
      - .offset:         16
        .size:           16
        .value_kind:     by_value
      - .actual_access:  read_only
        .address_space:  global
        .offset:         32
        .size:           8
        .value_kind:     global_buffer
      - .actual_access:  read_only
        .address_space:  global
        .offset:         40
        .size:           8
        .value_kind:     global_buffer
      - .actual_access:  read_only
        .address_space:  global
        .offset:         48
        .size:           8
        .value_kind:     global_buffer
      - .offset:         56
        .size:           4
        .value_kind:     by_value
      - .offset:         60
        .size:           4
        .value_kind:     by_value
      - .actual_access:  read_only
        .address_space:  global
        .offset:         64
        .size:           8
        .value_kind:     global_buffer
      - .offset:         72
        .size:           8
        .value_kind:     by_value
      - .offset:         80
        .size:           16
        .value_kind:     by_value
      - .address_space:  global
        .offset:         96
        .size:           8
        .value_kind:     global_buffer
      - .offset:         104
        .size:           8
        .value_kind:     by_value
      - .offset:         112
        .size:           4
        .value_kind:     by_value
      - .offset:         116
        .size:           1
        .value_kind:     by_value
    .group_segment_fixed_size: 912
    .kernarg_segment_align: 8
    .kernarg_segment_size: 120
    .language:       OpenCL C
    .language_version:
      - 2
      - 0
    .max_flat_workgroup_size: 48
    .name:           _ZN9rocsparseL29gebsrmm_small_blockdim_kernelILi1ELi3ELi3ELi16E21rocsparse_complex_numIdEEEv20rocsparse_direction_20rocsparse_operation_iiNS_24const_host_device_scalarIT3_EEPKiS9_PKS6_iiSB_lS7_PS6_l21rocsparse_index_base_b
    .private_segment_fixed_size: 0
    .sgpr_count:     40
    .sgpr_spill_count: 0
    .symbol:         _ZN9rocsparseL29gebsrmm_small_blockdim_kernelILi1ELi3ELi3ELi16E21rocsparse_complex_numIdEEEv20rocsparse_direction_20rocsparse_operation_iiNS_24const_host_device_scalarIT3_EEPKiS9_PKS6_iiSB_lS7_PS6_l21rocsparse_index_base_b.kd
    .uniform_work_group_size: 1
    .uses_dynamic_stack: false
    .vgpr_count:     38
    .vgpr_spill_count: 0
    .wavefront_size: 64
  - .args:
      - .offset:         0
        .size:           4
        .value_kind:     by_value
      - .offset:         4
        .size:           4
        .value_kind:     by_value
      - .offset:         8
        .size:           4
        .value_kind:     by_value
      - .offset:         12
        .size:           4
        .value_kind:     by_value
      - .offset:         16
        .size:           16
        .value_kind:     by_value
      - .actual_access:  read_only
        .address_space:  global
        .offset:         32
        .size:           8
        .value_kind:     global_buffer
      - .actual_access:  read_only
        .address_space:  global
        .offset:         40
        .size:           8
        .value_kind:     global_buffer
      - .actual_access:  read_only
        .address_space:  global
        .offset:         48
        .size:           8
        .value_kind:     global_buffer
      - .offset:         56
        .size:           4
        .value_kind:     by_value
      - .offset:         60
        .size:           4
        .value_kind:     by_value
      - .actual_access:  read_only
        .address_space:  global
        .offset:         64
        .size:           8
        .value_kind:     global_buffer
      - .offset:         72
        .size:           8
        .value_kind:     by_value
      - .offset:         80
        .size:           16
        .value_kind:     by_value
      - .address_space:  global
        .offset:         96
        .size:           8
        .value_kind:     global_buffer
      - .offset:         104
        .size:           8
        .value_kind:     by_value
      - .offset:         112
        .size:           4
        .value_kind:     by_value
      - .offset:         116
        .size:           1
        .value_kind:     by_value
    .group_segment_fixed_size: 1280
    .kernarg_segment_align: 8
    .kernarg_segment_size: 120
    .language:       OpenCL C
    .language_version:
      - 2
      - 0
    .max_flat_workgroup_size: 64
    .name:           _ZN9rocsparseL29gebsrmm_small_blockdim_kernelILi1ELi4ELi4ELi16E21rocsparse_complex_numIdEEEv20rocsparse_direction_20rocsparse_operation_iiNS_24const_host_device_scalarIT3_EEPKiS9_PKS6_iiSB_lS7_PS6_l21rocsparse_index_base_b
    .private_segment_fixed_size: 0
    .sgpr_count:     40
    .sgpr_spill_count: 0
    .symbol:         _ZN9rocsparseL29gebsrmm_small_blockdim_kernelILi1ELi4ELi4ELi16E21rocsparse_complex_numIdEEEv20rocsparse_direction_20rocsparse_operation_iiNS_24const_host_device_scalarIT3_EEPKiS9_PKS6_iiSB_lS7_PS6_l21rocsparse_index_base_b.kd
    .uniform_work_group_size: 1
    .uses_dynamic_stack: false
    .vgpr_count:     38
    .vgpr_spill_count: 0
    .wavefront_size: 64
  - .args:
      - .offset:         0
        .size:           4
        .value_kind:     by_value
      - .offset:         4
        .size:           4
        .value_kind:     by_value
      - .offset:         8
        .size:           4
        .value_kind:     by_value
      - .offset:         12
        .size:           4
        .value_kind:     by_value
      - .offset:         16
        .size:           16
        .value_kind:     by_value
      - .actual_access:  read_only
        .address_space:  global
        .offset:         32
        .size:           8
        .value_kind:     global_buffer
      - .actual_access:  read_only
        .address_space:  global
        .offset:         40
        .size:           8
        .value_kind:     global_buffer
      - .actual_access:  read_only
        .address_space:  global
        .offset:         48
        .size:           8
        .value_kind:     global_buffer
      - .offset:         56
        .size:           4
        .value_kind:     by_value
      - .offset:         60
        .size:           4
        .value_kind:     by_value
      - .actual_access:  read_only
        .address_space:  global
        .offset:         64
        .size:           8
        .value_kind:     global_buffer
      - .offset:         72
        .size:           8
        .value_kind:     by_value
      - .offset:         80
        .size:           16
        .value_kind:     by_value
      - .address_space:  global
        .offset:         96
        .size:           8
        .value_kind:     global_buffer
      - .offset:         104
        .size:           8
        .value_kind:     by_value
      - .offset:         112
        .size:           4
        .value_kind:     by_value
      - .offset:         116
        .size:           1
        .value_kind:     by_value
    .group_segment_fixed_size: 576
    .kernarg_segment_align: 8
    .kernarg_segment_size: 120
    .language:       OpenCL C
    .language_version:
      - 2
      - 0
    .max_flat_workgroup_size: 32
    .name:           _ZN9rocsparseL29gebsrmm_small_blockdim_kernelILi2ELi1ELi2ELi16E21rocsparse_complex_numIdEEEv20rocsparse_direction_20rocsparse_operation_iiNS_24const_host_device_scalarIT3_EEPKiS9_PKS6_iiSB_lS7_PS6_l21rocsparse_index_base_b
    .private_segment_fixed_size: 0
    .sgpr_count:     40
    .sgpr_spill_count: 0
    .symbol:         _ZN9rocsparseL29gebsrmm_small_blockdim_kernelILi2ELi1ELi2ELi16E21rocsparse_complex_numIdEEEv20rocsparse_direction_20rocsparse_operation_iiNS_24const_host_device_scalarIT3_EEPKiS9_PKS6_iiSB_lS7_PS6_l21rocsparse_index_base_b.kd
    .uniform_work_group_size: 1
    .uses_dynamic_stack: false
    .vgpr_count:     37
    .vgpr_spill_count: 0
    .wavefront_size: 64
  - .args:
      - .offset:         0
        .size:           4
        .value_kind:     by_value
      - .offset:         4
        .size:           4
        .value_kind:     by_value
      - .offset:         8
        .size:           4
        .value_kind:     by_value
      - .offset:         12
        .size:           4
        .value_kind:     by_value
      - .offset:         16
        .size:           16
        .value_kind:     by_value
      - .actual_access:  read_only
        .address_space:  global
        .offset:         32
        .size:           8
        .value_kind:     global_buffer
      - .actual_access:  read_only
        .address_space:  global
        .offset:         40
        .size:           8
        .value_kind:     global_buffer
      - .actual_access:  read_only
        .address_space:  global
        .offset:         48
        .size:           8
        .value_kind:     global_buffer
      - .offset:         56
        .size:           4
        .value_kind:     by_value
      - .offset:         60
        .size:           4
        .value_kind:     by_value
      - .actual_access:  read_only
        .address_space:  global
        .offset:         64
        .size:           8
        .value_kind:     global_buffer
      - .offset:         72
        .size:           8
        .value_kind:     by_value
      - .offset:         80
        .size:           16
        .value_kind:     by_value
      - .address_space:  global
        .offset:         96
        .size:           8
        .value_kind:     global_buffer
      - .offset:         104
        .size:           8
        .value_kind:     by_value
      - .offset:         112
        .size:           4
        .value_kind:     by_value
      - .offset:         116
        .size:           1
        .value_kind:     by_value
    .group_segment_fixed_size: 912
    .kernarg_segment_align: 8
    .kernarg_segment_size: 120
    .language:       OpenCL C
    .language_version:
      - 2
      - 0
    .max_flat_workgroup_size: 48
    .name:           _ZN9rocsparseL29gebsrmm_small_blockdim_kernelILi2ELi3ELi3ELi16E21rocsparse_complex_numIdEEEv20rocsparse_direction_20rocsparse_operation_iiNS_24const_host_device_scalarIT3_EEPKiS9_PKS6_iiSB_lS7_PS6_l21rocsparse_index_base_b
    .private_segment_fixed_size: 0
    .sgpr_count:     40
    .sgpr_spill_count: 0
    .symbol:         _ZN9rocsparseL29gebsrmm_small_blockdim_kernelILi2ELi3ELi3ELi16E21rocsparse_complex_numIdEEEv20rocsparse_direction_20rocsparse_operation_iiNS_24const_host_device_scalarIT3_EEPKiS9_PKS6_iiSB_lS7_PS6_l21rocsparse_index_base_b.kd
    .uniform_work_group_size: 1
    .uses_dynamic_stack: false
    .vgpr_count:     37
    .vgpr_spill_count: 0
    .wavefront_size: 64
  - .args:
      - .offset:         0
        .size:           4
        .value_kind:     by_value
      - .offset:         4
        .size:           4
        .value_kind:     by_value
      - .offset:         8
        .size:           4
        .value_kind:     by_value
      - .offset:         12
        .size:           4
        .value_kind:     by_value
      - .offset:         16
        .size:           16
        .value_kind:     by_value
      - .actual_access:  read_only
        .address_space:  global
        .offset:         32
        .size:           8
        .value_kind:     global_buffer
      - .actual_access:  read_only
        .address_space:  global
        .offset:         40
        .size:           8
        .value_kind:     global_buffer
      - .actual_access:  read_only
        .address_space:  global
        .offset:         48
        .size:           8
        .value_kind:     global_buffer
      - .offset:         56
        .size:           4
        .value_kind:     by_value
      - .offset:         60
        .size:           4
        .value_kind:     by_value
      - .actual_access:  read_only
        .address_space:  global
        .offset:         64
        .size:           8
        .value_kind:     global_buffer
      - .offset:         72
        .size:           8
        .value_kind:     by_value
      - .offset:         80
        .size:           16
        .value_kind:     by_value
      - .address_space:  global
        .offset:         96
        .size:           8
        .value_kind:     global_buffer
      - .offset:         104
        .size:           8
        .value_kind:     by_value
      - .offset:         112
        .size:           4
        .value_kind:     by_value
      - .offset:         116
        .size:           1
        .value_kind:     by_value
    .group_segment_fixed_size: 1280
    .kernarg_segment_align: 8
    .kernarg_segment_size: 120
    .language:       OpenCL C
    .language_version:
      - 2
      - 0
    .max_flat_workgroup_size: 64
    .name:           _ZN9rocsparseL29gebsrmm_small_blockdim_kernelILi2ELi4ELi4ELi16E21rocsparse_complex_numIdEEEv20rocsparse_direction_20rocsparse_operation_iiNS_24const_host_device_scalarIT3_EEPKiS9_PKS6_iiSB_lS7_PS6_l21rocsparse_index_base_b
    .private_segment_fixed_size: 0
    .sgpr_count:     40
    .sgpr_spill_count: 0
    .symbol:         _ZN9rocsparseL29gebsrmm_small_blockdim_kernelILi2ELi4ELi4ELi16E21rocsparse_complex_numIdEEEv20rocsparse_direction_20rocsparse_operation_iiNS_24const_host_device_scalarIT3_EEPKiS9_PKS6_iiSB_lS7_PS6_l21rocsparse_index_base_b.kd
    .uniform_work_group_size: 1
    .uses_dynamic_stack: false
    .vgpr_count:     37
    .vgpr_spill_count: 0
    .wavefront_size: 64
  - .args:
      - .offset:         0
        .size:           4
        .value_kind:     by_value
      - .offset:         4
        .size:           4
        .value_kind:     by_value
      - .offset:         8
        .size:           4
        .value_kind:     by_value
      - .offset:         12
        .size:           4
        .value_kind:     by_value
      - .offset:         16
        .size:           16
        .value_kind:     by_value
      - .actual_access:  read_only
        .address_space:  global
        .offset:         32
        .size:           8
        .value_kind:     global_buffer
      - .actual_access:  read_only
        .address_space:  global
        .offset:         40
        .size:           8
        .value_kind:     global_buffer
      - .actual_access:  read_only
        .address_space:  global
        .offset:         48
        .size:           8
        .value_kind:     global_buffer
      - .offset:         56
        .size:           4
        .value_kind:     by_value
      - .offset:         60
        .size:           4
        .value_kind:     by_value
      - .actual_access:  read_only
        .address_space:  global
        .offset:         64
        .size:           8
        .value_kind:     global_buffer
      - .offset:         72
        .size:           8
        .value_kind:     by_value
      - .offset:         80
        .size:           16
        .value_kind:     by_value
      - .address_space:  global
        .offset:         96
        .size:           8
        .value_kind:     global_buffer
      - .offset:         104
        .size:           8
        .value_kind:     by_value
      - .offset:         112
        .size:           4
        .value_kind:     by_value
      - .offset:         116
        .size:           1
        .value_kind:     by_value
    .group_segment_fixed_size: 912
    .kernarg_segment_align: 8
    .kernarg_segment_size: 120
    .language:       OpenCL C
    .language_version:
      - 2
      - 0
    .max_flat_workgroup_size: 48
    .name:           _ZN9rocsparseL29gebsrmm_small_blockdim_kernelILi3ELi1ELi3ELi16E21rocsparse_complex_numIdEEEv20rocsparse_direction_20rocsparse_operation_iiNS_24const_host_device_scalarIT3_EEPKiS9_PKS6_iiSB_lS7_PS6_l21rocsparse_index_base_b
    .private_segment_fixed_size: 0
    .sgpr_count:     40
    .sgpr_spill_count: 0
    .symbol:         _ZN9rocsparseL29gebsrmm_small_blockdim_kernelILi3ELi1ELi3ELi16E21rocsparse_complex_numIdEEEv20rocsparse_direction_20rocsparse_operation_iiNS_24const_host_device_scalarIT3_EEPKiS9_PKS6_iiSB_lS7_PS6_l21rocsparse_index_base_b.kd
    .uniform_work_group_size: 1
    .uses_dynamic_stack: false
    .vgpr_count:     37
    .vgpr_spill_count: 0
    .wavefront_size: 64
  - .args:
      - .offset:         0
        .size:           4
        .value_kind:     by_value
      - .offset:         4
        .size:           4
        .value_kind:     by_value
      - .offset:         8
        .size:           4
        .value_kind:     by_value
      - .offset:         12
        .size:           4
        .value_kind:     by_value
      - .offset:         16
        .size:           16
        .value_kind:     by_value
      - .actual_access:  read_only
        .address_space:  global
        .offset:         32
        .size:           8
        .value_kind:     global_buffer
      - .actual_access:  read_only
        .address_space:  global
        .offset:         40
        .size:           8
        .value_kind:     global_buffer
      - .actual_access:  read_only
        .address_space:  global
        .offset:         48
        .size:           8
        .value_kind:     global_buffer
      - .offset:         56
        .size:           4
        .value_kind:     by_value
      - .offset:         60
        .size:           4
        .value_kind:     by_value
      - .actual_access:  read_only
        .address_space:  global
        .offset:         64
        .size:           8
        .value_kind:     global_buffer
      - .offset:         72
        .size:           8
        .value_kind:     by_value
      - .offset:         80
        .size:           16
        .value_kind:     by_value
      - .address_space:  global
        .offset:         96
        .size:           8
        .value_kind:     global_buffer
      - .offset:         104
        .size:           8
        .value_kind:     by_value
      - .offset:         112
        .size:           4
        .value_kind:     by_value
      - .offset:         116
        .size:           1
        .value_kind:     by_value
    .group_segment_fixed_size: 912
    .kernarg_segment_align: 8
    .kernarg_segment_size: 120
    .language:       OpenCL C
    .language_version:
      - 2
      - 0
    .max_flat_workgroup_size: 48
    .name:           _ZN9rocsparseL29gebsrmm_small_blockdim_kernelILi3ELi2ELi3ELi16E21rocsparse_complex_numIdEEEv20rocsparse_direction_20rocsparse_operation_iiNS_24const_host_device_scalarIT3_EEPKiS9_PKS6_iiSB_lS7_PS6_l21rocsparse_index_base_b
    .private_segment_fixed_size: 0
    .sgpr_count:     40
    .sgpr_spill_count: 0
    .symbol:         _ZN9rocsparseL29gebsrmm_small_blockdim_kernelILi3ELi2ELi3ELi16E21rocsparse_complex_numIdEEEv20rocsparse_direction_20rocsparse_operation_iiNS_24const_host_device_scalarIT3_EEPKiS9_PKS6_iiSB_lS7_PS6_l21rocsparse_index_base_b.kd
    .uniform_work_group_size: 1
    .uses_dynamic_stack: false
    .vgpr_count:     37
    .vgpr_spill_count: 0
    .wavefront_size: 64
  - .args:
      - .offset:         0
        .size:           4
        .value_kind:     by_value
      - .offset:         4
        .size:           4
        .value_kind:     by_value
      - .offset:         8
        .size:           4
        .value_kind:     by_value
      - .offset:         12
        .size:           4
        .value_kind:     by_value
      - .offset:         16
        .size:           16
        .value_kind:     by_value
      - .actual_access:  read_only
        .address_space:  global
        .offset:         32
        .size:           8
        .value_kind:     global_buffer
      - .actual_access:  read_only
        .address_space:  global
        .offset:         40
        .size:           8
        .value_kind:     global_buffer
      - .actual_access:  read_only
        .address_space:  global
        .offset:         48
        .size:           8
        .value_kind:     global_buffer
      - .offset:         56
        .size:           4
        .value_kind:     by_value
      - .offset:         60
        .size:           4
        .value_kind:     by_value
      - .actual_access:  read_only
        .address_space:  global
        .offset:         64
        .size:           8
        .value_kind:     global_buffer
      - .offset:         72
        .size:           8
        .value_kind:     by_value
      - .offset:         80
        .size:           16
        .value_kind:     by_value
      - .address_space:  global
        .offset:         96
        .size:           8
        .value_kind:     global_buffer
      - .offset:         104
        .size:           8
        .value_kind:     by_value
      - .offset:         112
        .size:           4
        .value_kind:     by_value
      - .offset:         116
        .size:           1
        .value_kind:     by_value
    .group_segment_fixed_size: 1280
    .kernarg_segment_align: 8
    .kernarg_segment_size: 120
    .language:       OpenCL C
    .language_version:
      - 2
      - 0
    .max_flat_workgroup_size: 64
    .name:           _ZN9rocsparseL29gebsrmm_small_blockdim_kernelILi3ELi4ELi4ELi16E21rocsparse_complex_numIdEEEv20rocsparse_direction_20rocsparse_operation_iiNS_24const_host_device_scalarIT3_EEPKiS9_PKS6_iiSB_lS7_PS6_l21rocsparse_index_base_b
    .private_segment_fixed_size: 0
    .sgpr_count:     40
    .sgpr_spill_count: 0
    .symbol:         _ZN9rocsparseL29gebsrmm_small_blockdim_kernelILi3ELi4ELi4ELi16E21rocsparse_complex_numIdEEEv20rocsparse_direction_20rocsparse_operation_iiNS_24const_host_device_scalarIT3_EEPKiS9_PKS6_iiSB_lS7_PS6_l21rocsparse_index_base_b.kd
    .uniform_work_group_size: 1
    .uses_dynamic_stack: false
    .vgpr_count:     37
    .vgpr_spill_count: 0
    .wavefront_size: 64
  - .args:
      - .offset:         0
        .size:           4
        .value_kind:     by_value
      - .offset:         4
        .size:           4
        .value_kind:     by_value
      - .offset:         8
        .size:           4
        .value_kind:     by_value
      - .offset:         12
        .size:           4
        .value_kind:     by_value
      - .offset:         16
        .size:           16
        .value_kind:     by_value
      - .actual_access:  read_only
        .address_space:  global
        .offset:         32
        .size:           8
        .value_kind:     global_buffer
      - .actual_access:  read_only
        .address_space:  global
        .offset:         40
        .size:           8
        .value_kind:     global_buffer
      - .actual_access:  read_only
        .address_space:  global
        .offset:         48
        .size:           8
        .value_kind:     global_buffer
      - .offset:         56
        .size:           4
        .value_kind:     by_value
      - .offset:         60
        .size:           4
        .value_kind:     by_value
      - .actual_access:  read_only
        .address_space:  global
        .offset:         64
        .size:           8
        .value_kind:     global_buffer
      - .offset:         72
        .size:           8
        .value_kind:     by_value
      - .offset:         80
        .size:           16
        .value_kind:     by_value
      - .address_space:  global
        .offset:         96
        .size:           8
        .value_kind:     global_buffer
      - .offset:         104
        .size:           8
        .value_kind:     by_value
      - .offset:         112
        .size:           4
        .value_kind:     by_value
      - .offset:         116
        .size:           1
        .value_kind:     by_value
    .group_segment_fixed_size: 1280
    .kernarg_segment_align: 8
    .kernarg_segment_size: 120
    .language:       OpenCL C
    .language_version:
      - 2
      - 0
    .max_flat_workgroup_size: 64
    .name:           _ZN9rocsparseL29gebsrmm_small_blockdim_kernelILi4ELi1ELi4ELi16E21rocsparse_complex_numIdEEEv20rocsparse_direction_20rocsparse_operation_iiNS_24const_host_device_scalarIT3_EEPKiS9_PKS6_iiSB_lS7_PS6_l21rocsparse_index_base_b
    .private_segment_fixed_size: 0
    .sgpr_count:     40
    .sgpr_spill_count: 0
    .symbol:         _ZN9rocsparseL29gebsrmm_small_blockdim_kernelILi4ELi1ELi4ELi16E21rocsparse_complex_numIdEEEv20rocsparse_direction_20rocsparse_operation_iiNS_24const_host_device_scalarIT3_EEPKiS9_PKS6_iiSB_lS7_PS6_l21rocsparse_index_base_b.kd
    .uniform_work_group_size: 1
    .uses_dynamic_stack: false
    .vgpr_count:     37
    .vgpr_spill_count: 0
    .wavefront_size: 64
  - .args:
      - .offset:         0
        .size:           4
        .value_kind:     by_value
      - .offset:         4
        .size:           4
        .value_kind:     by_value
      - .offset:         8
        .size:           4
        .value_kind:     by_value
      - .offset:         12
        .size:           4
        .value_kind:     by_value
      - .offset:         16
        .size:           16
        .value_kind:     by_value
      - .actual_access:  read_only
        .address_space:  global
        .offset:         32
        .size:           8
        .value_kind:     global_buffer
      - .actual_access:  read_only
        .address_space:  global
        .offset:         40
        .size:           8
        .value_kind:     global_buffer
      - .actual_access:  read_only
        .address_space:  global
        .offset:         48
        .size:           8
        .value_kind:     global_buffer
      - .offset:         56
        .size:           4
        .value_kind:     by_value
      - .offset:         60
        .size:           4
        .value_kind:     by_value
      - .actual_access:  read_only
        .address_space:  global
        .offset:         64
        .size:           8
        .value_kind:     global_buffer
      - .offset:         72
        .size:           8
        .value_kind:     by_value
      - .offset:         80
        .size:           16
        .value_kind:     by_value
      - .address_space:  global
        .offset:         96
        .size:           8
        .value_kind:     global_buffer
      - .offset:         104
        .size:           8
        .value_kind:     by_value
      - .offset:         112
        .size:           4
        .value_kind:     by_value
      - .offset:         116
        .size:           1
        .value_kind:     by_value
    .group_segment_fixed_size: 1280
    .kernarg_segment_align: 8
    .kernarg_segment_size: 120
    .language:       OpenCL C
    .language_version:
      - 2
      - 0
    .max_flat_workgroup_size: 64
    .name:           _ZN9rocsparseL29gebsrmm_small_blockdim_kernelILi4ELi2ELi4ELi16E21rocsparse_complex_numIdEEEv20rocsparse_direction_20rocsparse_operation_iiNS_24const_host_device_scalarIT3_EEPKiS9_PKS6_iiSB_lS7_PS6_l21rocsparse_index_base_b
    .private_segment_fixed_size: 0
    .sgpr_count:     40
    .sgpr_spill_count: 0
    .symbol:         _ZN9rocsparseL29gebsrmm_small_blockdim_kernelILi4ELi2ELi4ELi16E21rocsparse_complex_numIdEEEv20rocsparse_direction_20rocsparse_operation_iiNS_24const_host_device_scalarIT3_EEPKiS9_PKS6_iiSB_lS7_PS6_l21rocsparse_index_base_b.kd
    .uniform_work_group_size: 1
    .uses_dynamic_stack: false
    .vgpr_count:     37
    .vgpr_spill_count: 0
    .wavefront_size: 64
  - .args:
      - .offset:         0
        .size:           4
        .value_kind:     by_value
      - .offset:         4
        .size:           4
        .value_kind:     by_value
      - .offset:         8
        .size:           4
        .value_kind:     by_value
      - .offset:         12
        .size:           4
        .value_kind:     by_value
      - .offset:         16
        .size:           16
        .value_kind:     by_value
      - .actual_access:  read_only
        .address_space:  global
        .offset:         32
        .size:           8
        .value_kind:     global_buffer
      - .actual_access:  read_only
        .address_space:  global
        .offset:         40
        .size:           8
        .value_kind:     global_buffer
      - .actual_access:  read_only
        .address_space:  global
        .offset:         48
        .size:           8
        .value_kind:     global_buffer
      - .offset:         56
        .size:           4
        .value_kind:     by_value
      - .offset:         60
        .size:           4
        .value_kind:     by_value
      - .actual_access:  read_only
        .address_space:  global
        .offset:         64
        .size:           8
        .value_kind:     global_buffer
      - .offset:         72
        .size:           8
        .value_kind:     by_value
      - .offset:         80
        .size:           16
        .value_kind:     by_value
      - .address_space:  global
        .offset:         96
        .size:           8
        .value_kind:     global_buffer
      - .offset:         104
        .size:           8
        .value_kind:     by_value
      - .offset:         112
        .size:           4
        .value_kind:     by_value
      - .offset:         116
        .size:           1
        .value_kind:     by_value
    .group_segment_fixed_size: 1280
    .kernarg_segment_align: 8
    .kernarg_segment_size: 120
    .language:       OpenCL C
    .language_version:
      - 2
      - 0
    .max_flat_workgroup_size: 64
    .name:           _ZN9rocsparseL29gebsrmm_small_blockdim_kernelILi4ELi3ELi4ELi16E21rocsparse_complex_numIdEEEv20rocsparse_direction_20rocsparse_operation_iiNS_24const_host_device_scalarIT3_EEPKiS9_PKS6_iiSB_lS7_PS6_l21rocsparse_index_base_b
    .private_segment_fixed_size: 0
    .sgpr_count:     40
    .sgpr_spill_count: 0
    .symbol:         _ZN9rocsparseL29gebsrmm_small_blockdim_kernelILi4ELi3ELi4ELi16E21rocsparse_complex_numIdEEEv20rocsparse_direction_20rocsparse_operation_iiNS_24const_host_device_scalarIT3_EEPKiS9_PKS6_iiSB_lS7_PS6_l21rocsparse_index_base_b.kd
    .uniform_work_group_size: 1
    .uses_dynamic_stack: false
    .vgpr_count:     37
    .vgpr_spill_count: 0
    .wavefront_size: 64
amdhsa.target:   amdgcn-amd-amdhsa--gfx906
amdhsa.version:
  - 1
  - 2
...

	.end_amdgpu_metadata
